;; amdgpu-corpus repo=ROCm/Tensile kind=harvested arch=n/a opt=n/a

/******************************************/
/* Function Prefix                        */
/******************************************/



/******************************************/
/* Begin Kernel                           */
/******************************************/

// Component.Signature.SignatureDefault
.amdgcn_target "amdgcn-amd-amdhsa--gfx90a"
.text
.protected Cijk_AlikC_Bjlk_CB_GB_MT128x64x8_MI16x16x4x1_SN_1LDSB1_APM1_ABV0_ACED0_AF0EM1_AF1EM1_AMAS3_ASE_ASGT_ASLT_ASEM1_AAC0_BL0_BS0_CLR0_DTVA0_DVO0_ETSP_EPS0_EMLL0_FL0_GLVWA2_GLVWB2_GRPM1_GRVW2_GSU1_GSUASB_GLS0_ISA90a_IU1_K1_KLA_LBSPPA0_LBSPPB0_LPA2_LPB0_LDL1_LRVW1_LWPMn1_LDW0_FMA_MIAV0_MO40_MMFGLC_NTA0_NTB0_NTC0_NTD0_NEPBS2_NLCA1_NLCB1_ONLL1_OPLV0_PK0_PAP0_PGR2_PLR3_SIA3_SS1_SU0_SUM0_SUS0_SCIUI1_SPO0_SRVW0_SSO0_SVW2_SNLL0_TSGRA0_TSGRB0_TT2_64_TLDS0_UMLDSA0_UMLDSB0_USFGROn1_VAW1_VSn1_VW2_VWB1_VFLRP0_WSGRA0_WSGRB0_WG64_4_1_WGM8
.globl Cijk_AlikC_Bjlk_CB_GB_MT128x64x8_MI16x16x4x1_SN_1LDSB1_APM1_ABV0_ACED0_AF0EM1_AF1EM1_AMAS3_ASE_ASGT_ASLT_ASEM1_AAC0_BL0_BS0_CLR0_DTVA0_DVO0_ETSP_EPS0_EMLL0_FL0_GLVWA2_GLVWB2_GRPM1_GRVW2_GSU1_GSUASB_GLS0_ISA90a_IU1_K1_KLA_LBSPPA0_LBSPPB0_LPA2_LPB0_LDL1_LRVW1_LWPMn1_LDW0_FMA_MIAV0_MO40_MMFGLC_NTA0_NTB0_NTC0_NTD0_NEPBS2_NLCA1_NLCB1_ONLL1_OPLV0_PK0_PAP0_PGR2_PLR3_SIA3_SS1_SU0_SUM0_SUS0_SCIUI1_SPO0_SRVW0_SSO0_SVW2_SNLL0_TSGRA0_TSGRB0_TT2_64_TLDS0_UMLDSA0_UMLDSB0_USFGROn1_VAW1_VSn1_VW2_VWB1_VFLRP0_WSGRA0_WSGRB0_WG64_4_1_WGM8
.p2align 8
.type Cijk_AlikC_Bjlk_CB_GB_MT128x64x8_MI16x16x4x1_SN_1LDSB1_APM1_ABV0_ACED0_AF0EM1_AF1EM1_AMAS3_ASE_ASGT_ASLT_ASEM1_AAC0_BL0_BS0_CLR0_DTVA0_DVO0_ETSP_EPS0_EMLL0_FL0_GLVWA2_GLVWB2_GRPM1_GRVW2_GSU1_GSUASB_GLS0_ISA90a_IU1_K1_KLA_LBSPPA0_LBSPPB0_LPA2_LPB0_LDL1_LRVW1_LWPMn1_LDW0_FMA_MIAV0_MO40_MMFGLC_NTA0_NTB0_NTC0_NTD0_NEPBS2_NLCA1_NLCB1_ONLL1_OPLV0_PK0_PAP0_PGR2_PLR3_SIA3_SS1_SU0_SUM0_SUS0_SCIUI1_SPO0_SRVW0_SSO0_SVW2_SNLL0_TSGRA0_TSGRB0_TT2_64_TLDS0_UMLDSA0_UMLDSB0_USFGROn1_VAW1_VSn1_VW2_VWB1_VFLRP0_WSGRA0_WSGRB0_WG64_4_1_WGM8,@function
.section .rodata,#alloc
.p2align 6
.amdhsa_kernel Cijk_AlikC_Bjlk_CB_GB_MT128x64x8_MI16x16x4x1_SN_1LDSB1_APM1_ABV0_ACED0_AF0EM1_AF1EM1_AMAS3_ASE_ASGT_ASLT_ASEM1_AAC0_BL0_BS0_CLR0_DTVA0_DVO0_ETSP_EPS0_EMLL0_FL0_GLVWA2_GLVWB2_GRPM1_GRVW2_GSU1_GSUASB_GLS0_ISA90a_IU1_K1_KLA_LBSPPA0_LBSPPB0_LPA2_LPB0_LDL1_LRVW1_LWPMn1_LDW0_FMA_MIAV0_MO40_MMFGLC_NTA0_NTB0_NTC0_NTD0_NEPBS2_NLCA1_NLCB1_ONLL1_OPLV0_PK0_PAP0_PGR2_PLR3_SIA3_SS1_SU0_SUM0_SUS0_SCIUI1_SPO0_SRVW0_SSO0_SVW2_SNLL0_TSGRA0_TSGRB0_TT2_64_TLDS0_UMLDSA0_UMLDSB0_USFGROn1_VAW1_VSn1_VW2_VWB1_VFLRP0_WSGRA0_WSGRB0_WG64_4_1_WGM8
  .amdhsa_user_sgpr_kernarg_segment_ptr 1
  .amdhsa_user_sgpr_kernarg_preload_offset 0
  .amdhsa_user_sgpr_kernarg_preload_length 0
  .amdhsa_user_sgpr_count 2
  .amdhsa_accum_offset 64 // accvgpr offset
  .amdhsa_next_free_vgpr 128 // vgprs
  .amdhsa_next_free_sgpr 52 // sgprs
  .amdhsa_group_segment_fixed_size 12544 // lds bytes
  .amdhsa_private_segment_fixed_size 0
  .amdhsa_system_sgpr_workgroup_id_x 1
  .amdhsa_system_sgpr_workgroup_id_y 1
  .amdhsa_system_sgpr_workgroup_id_z 1
  .amdhsa_system_vgpr_workitem_id 0
  .amdhsa_float_denorm_mode_32 3
  .amdhsa_float_denorm_mode_16_64 3
.end_amdhsa_kernel
.text

/******************************************/
/* Optimizations and Config:              */
/******************************************/
/* ThreadTile= 8 x 4 */
/* SubGroup= 16 x 16 */
/* VectorWidthA=2 */
/* VectorWidthB=1 */
/* GlobalLoadVectorWidthA=2, GlobalLoadVectorWidthB=2 */
/* DirectToLdsA=False */
/* DirectToLdsB=False */
/* UseSgprForGRO=False */
.amdgpu_metadata
---
amdhsa.version:
  - 1
  - 1
amdhsa.target: amdgcn-amd-amdhsa--gfx90a
amdhsa.kernels:
  - .name: Cijk_AlikC_Bjlk_CB_GB_MT128x64x8_MI16x16x4x1_SN_1LDSB1_APM1_ABV0_ACED0_AF0EM1_AF1EM1_AMAS3_ASE_ASGT_ASLT_ASEM1_AAC0_BL0_BS0_CLR0_DTVA0_DVO0_ETSP_EPS0_EMLL0_FL0_GLVWA2_GLVWB2_GRPM1_GRVW2_GSU1_GSUASB_GLS0_ISA90a_IU1_K1_KLA_LBSPPA0_LBSPPB0_LPA2_LPB0_LDL1_LRVW1_LWPMn1_LDW0_FMA_MIAV0_MO40_MMFGLC_NTA0_NTB0_NTC0_NTD0_NEPBS2_NLCA1_NLCB1_ONLL1_OPLV0_PK0_PAP0_PGR2_PLR3_SIA3_SS1_SU0_SUM0_SUS0_SCIUI1_SPO0_SRVW0_SSO0_SVW2_SNLL0_TSGRA0_TSGRB0_TT2_64_TLDS0_UMLDSA0_UMLDSB0_USFGROn1_VAW1_VSn1_VW2_VWB1_VFLRP0_WSGRA0_WSGRB0_WG64_4_1_WGM8
    .symbol: 'Cijk_AlikC_Bjlk_CB_GB_MT128x64x8_MI16x16x4x1_SN_1LDSB1_APM1_ABV0_ACED0_AF0EM1_AF1EM1_AMAS3_ASE_ASGT_ASLT_ASEM1_AAC0_BL0_BS0_CLR0_DTVA0_DVO0_ETSP_EPS0_EMLL0_FL0_GLVWA2_GLVWB2_GRPM1_GRVW2_GSU1_GSUASB_GLS0_ISA90a_IU1_K1_KLA_LBSPPA0_LBSPPB0_LPA2_LPB0_LDL1_LRVW1_LWPMn1_LDW0_FMA_MIAV0_MO40_MMFGLC_NTA0_NTB0_NTC0_NTD0_NEPBS2_NLCA1_NLCB1_ONLL1_OPLV0_PK0_PAP0_PGR2_PLR3_SIA3_SS1_SU0_SUM0_SUS0_SCIUI1_SPO0_SRVW0_SSO0_SVW2_SNLL0_TSGRA0_TSGRB0_TT2_64_TLDS0_UMLDSA0_UMLDSB0_USFGROn1_VAW1_VSn1_VW2_VWB1_VFLRP0_WSGRA0_WSGRB0_WG64_4_1_WGM8.kd'
    .language:                   OpenCL C
    .language_version:
      - 2
      - 0
    .args:
      - .name:            Tensor2dSizeA
        .size:            8
        .offset:          0
        .value_kind:      by_value
        .value_type:      u64
      - .name:            Tensor2dSizeB
        .size:            8
        .offset:          8
        .value_kind:      by_value
        .value_type:      u64
      - .name:            AddressD
        .size:            8
        .offset:          16
        .value_kind:      by_value
        .value_type:      u64
      - .name:            AddressC
        .size:            8
        .offset:          24
        .value_kind:      by_value
        .value_type:      u64
      - .name:            AddressA
        .size:            8
        .offset:          32
        .value_kind:      by_value
        .value_type:      u64
      - .name:            AddressB
        .size:            8
        .offset:          40
        .value_kind:      by_value
        .value_type:      u64
      - .name:            OffsetD
        .size:            8
        .offset:          48
        .value_kind:      by_value
        .value_type:      u64
      - .name:            OffsetC
        .size:            8
        .offset:          56
        .value_kind:      by_value
        .value_type:      u64
      - .name:            OffsetA
        .size:            8
        .offset:          64
        .value_kind:      by_value
        .value_type:      u64
      - .name:            OffsetB
        .size:            8
        .offset:          72
        .value_kind:      by_value
        .value_type:      u64
      - .name:            Alpha
        .size:            8
        .offset:          80
        .value_kind:      by_value
        .value_type:      u64
      - .name:            Beta
        .size:            8
        .offset:          88
        .value_kind:      by_value
        .value_type:      u64
      - .name:            StridesD
        .size:            8
        .offset:          96
        .value_kind:      by_value
        .value_type:      u64
      - .name:            StridesC
        .size:            8
        .offset:          104
        .value_kind:      by_value
        .value_type:      u64
      - .name:            StridesA
        .size:            8
        .offset:          112
        .value_kind:      by_value
        .value_type:      u64
      - .name:            StridesB
        .size:            8
        .offset:          120
        .value_kind:      by_value
        .value_type:      u64
      - .name:            SizesFree
        .size:            12
        .offset:          128
        .value_kind:      by_value
        .value_type:      u96
      - .name:            SizesSum
        .size:            4
        .offset:          140
        .value_kind:      by_value
        .value_type:      u32
      - .name:            NumWorkGroups0
        .size:            4
        .offset:          144
        .value_kind:      by_value
        .value_type:      u32
      - .name:            NumWorkGroups1
        .size:            4
        .offset:          148
        .value_kind:      by_value
        .value_type:      u32
      - .name:            NumFullBlocks
        .size:            4
        .offset:          152
        .value_kind:      by_value
        .value_type:      u32
      - .name:            WgmRemainder1
        .size:            4
        .offset:          156
        .value_kind:      by_value
        .value_type:      u32
      - .name:            MagicNumberWgmRemainder1
        .size:            4
        .offset:          160
        .value_kind:      by_value
        .value_type:      u32
    .group_segment_fixed_size:   12544
    .kernarg_segment_align:      8
    .kernarg_segment_size:       168
    .max_flat_workgroup_size:    256
    .private_segment_fixed_size: 0
    .sgpr_count:                 52
    .sgpr_spill_count:           0
    .vgpr_count:                 64
    .vgpr_spill_count:           0
    .wavefront_size:             64
...
.end_amdgpu_metadata
Cijk_AlikC_Bjlk_CB_GB_MT128x64x8_MI16x16x4x1_SN_1LDSB1_APM1_ABV0_ACED0_AF0EM1_AF1EM1_AMAS3_ASE_ASGT_ASLT_ASEM1_AAC0_BL0_BS0_CLR0_DTVA0_DVO0_ETSP_EPS0_EMLL0_FL0_GLVWA2_GLVWB2_GRPM1_GRVW2_GSU1_GSUASB_GLS0_ISA90a_IU1_K1_KLA_LBSPPA0_LBSPPB0_LPA2_LPB0_LDL1_LRVW1_LWPMn1_LDW0_FMA_MIAV0_MO40_MMFGLC_NTA0_NTB0_NTC0_NTD0_NEPBS2_NLCA1_NLCB1_ONLL1_OPLV0_PK0_PAP0_PGR2_PLR3_SIA3_SS1_SU0_SUM0_SUS0_SCIUI1_SPO0_SRVW0_SSO0_SVW2_SNLL0_TSGRA0_TSGRB0_TT2_64_TLDS0_UMLDSA0_UMLDSB0_USFGROn1_VAW1_VSn1_VW2_VWB1_VFLRP0_WSGRA0_WSGRB0_WG64_4_1_WGM8:

/******************************************/
/* Asm syntax workarounds                 */
/******************************************/
.macro _v_add_co_u32 dst:req, cc:req, src0:req, src1:req, dpp=
   v_add_co_u32 \dst, \cc, \src0, \src1 \dpp
.endm

.macro _v_add_u32 dst:req, src0:req, src1:req, dpp=
   v_add_u32 \dst, \src0, \src1 \dpp
.endm

.macro _v_add_i32 dst:req, src0:req, src1:req, dpp=
   v_add_i32 \dst, \src0, \src1 \dpp
.endm

.macro _v_addc_co_u32 dst:req, ccOut:req, src0:req, ccIn:req, src1:req, dpp=
   v_addc_co_u32 \dst, \ccOut, \src0, \ccIn, \src1 \dpp
.endm

.macro _v_sub_co_u32 dst:req, cc:req, src0:req, src1:req, dpp=
   v_sub_co_u32 \dst, \cc, \src0, \src1 \dpp
.endm

.macro _v_sub_u32 dst:req, src0:req, src1:req, dpp=
   v_sub_u32 \dst, \src0, \src1 \dpp
.endm

.macro _v_sub_i32 dst:req, src0:req, src1:req, dpp=
   v_sub_i32 \dst, \src0, \src1 \dpp
.endm

.macro _v_add_lshl_u32 dst:req, src0:req, src1:req, shiftCnt:req
    v_add_lshl_u32 \dst, \src0, \src1, \shiftCnt
.endm

.macro _v_lshl_add_u32 dst:req, src0:req, src1:req, shiftCnt:req
    v_lshl_add_u32 \dst, \src0, \src1, \shiftCnt
.endm

.macro _v_lshl_or_b32 dst:req, src0:req, shiftCnt:req, src1:req
    v_lshl_or_b32 \dst, \src0, \shiftCnt, \src1
.endm

.macro _v_dot2acc_f32_f16 dst, src0, src1
v_dot2c_f32_f16 \dst, \src0, \src1
.endm

.macro _v_cmpx_lt_i16 dst, src0, src1=
   v_cmpx_lt_i16 \dst, \src0, \src1 
.endm

.macro _v_cmpx_lt_i32 dst, src0, src1=
   v_cmpx_lt_i32 \dst, \src0, \src1 
.endm

.macro _v_cmpx_lt_i64 dst, src0, src1=
   v_cmpx_lt_i64 \dst, \src0, \src1 
.endm

.macro _v_cmpx_lt_u16 dst, src0, src1=
   v_cmpx_lt_u16 \dst, \src0, \src1 
.endm

.macro _v_cmpx_lt_u32 dst, src0, src1=
   v_cmpx_lt_u32 \dst, \src0, \src1 
.endm

.macro _v_cmpx_lt_u64 dst, src0, src1=
   v_cmpx_lt_u64 \dst, \src0, \src1 
.endm

.macro _v_cmpx_eq_i16 dst, src0, src1=
   v_cmpx_eq_i16 \dst, \src0, \src1 
.endm

.macro _v_cmpx_eq_i32 dst, src0, src1=
   v_cmpx_eq_i32 \dst, \src0, \src1 
.endm

.macro _v_cmpx_eq_i64 dst, src0, src1=
   v_cmpx_eq_i64 \dst, \src0, \src1 
.endm

.macro _v_cmpx_eq_u16 dst, src0, src1=
   v_cmpx_eq_u16 \dst, \src0, \src1 
.endm

.macro _v_cmpx_eq_u32 dst, src0, src1=
   v_cmpx_eq_u32 \dst, \src0, \src1 
.endm

.macro _v_cmpx_eq_u64 dst, src0, src1=
   v_cmpx_eq_u64 \dst, \src0, \src1 
.endm

.macro _v_cmpx_le_i16 dst, src0, src1=
   v_cmpx_le_i16 \dst, \src0, \src1 
.endm

.macro _v_cmpx_le_i32 dst, src0, src1=
   v_cmpx_le_i32 \dst, \src0, \src1 
.endm

.macro _v_cmpx_le_i64 dst, src0, src1=
   v_cmpx_le_i64 \dst, \src0, \src1 
.endm

.macro _v_cmpx_le_u16 dst, src0, src1=
   v_cmpx_le_u16 \dst, \src0, \src1 
.endm

.macro _v_cmpx_le_u32 dst, src0, src1=
   v_cmpx_le_u32 \dst, \src0, \src1 
.endm

.macro _v_cmpx_le_u64 dst, src0, src1=
   v_cmpx_le_u64 \dst, \src0, \src1 
.endm

.macro _v_cmpx_gt_i16 dst, src0, src1=
   v_cmpx_gt_i16 \dst, \src0, \src1 
.endm

.macro _v_cmpx_gt_i32 dst, src0, src1=
   v_cmpx_gt_i32 \dst, \src0, \src1 
.endm

.macro _v_cmpx_gt_i64 dst, src0, src1=
   v_cmpx_gt_i64 \dst, \src0, \src1 
.endm

.macro _v_cmpx_gt_u16 dst, src0, src1=
   v_cmpx_gt_u16 \dst, \src0, \src1 
.endm

.macro _v_cmpx_gt_u32 dst, src0, src1=
   v_cmpx_gt_u32 \dst, \src0, \src1 
.endm

.macro _v_cmpx_gt_u64 dst, src0, src1=
   v_cmpx_gt_u64 \dst, \src0, \src1 
.endm

.macro _v_cmpx_ne_i16 dst, src0, src1=
   v_cmpx_ne_i16 \dst, \src0, \src1 
.endm

.macro _v_cmpx_ne_i32 dst, src0, src1=
   v_cmpx_ne_i32 \dst, \src0, \src1 
.endm

.macro _v_cmpx_ne_i64 dst, src0, src1=
   v_cmpx_ne_i64 \dst, \src0, \src1 
.endm

.macro _v_cmpx_ne_u16 dst, src0, src1=
   v_cmpx_ne_u16 \dst, \src0, \src1 
.endm

.macro _v_cmpx_ne_u32 dst, src0, src1=
   v_cmpx_ne_u32 \dst, \src0, \src1 
.endm

.macro _v_cmpx_ne_u64 dst, src0, src1=
   v_cmpx_ne_u64 \dst, \src0, \src1 
.endm

.macro _v_cmpx_lg_i16 dst, src0, src1=
   v_cmpx_lg_i16 \dst, \src0, \src1 
.endm

.macro _v_cmpx_lg_i32 dst, src0, src1=
   v_cmpx_lg_i32 \dst, \src0, \src1 
.endm

.macro _v_cmpx_lg_i64 dst, src0, src1=
   v_cmpx_lg_i64 \dst, \src0, \src1 
.endm

.macro _v_cmpx_lg_u16 dst, src0, src1=
   v_cmpx_lg_u16 \dst, \src0, \src1 
.endm

.macro _v_cmpx_lg_u32 dst, src0, src1=
   v_cmpx_lg_u32 \dst, \src0, \src1 
.endm

.macro _v_cmpx_lg_u64 dst, src0, src1=
   v_cmpx_lg_u64 \dst, \src0, \src1 
.endm

.macro _v_cmpx_ge_i16 dst, src0, src1=
   v_cmpx_ge_i16 \dst, \src0, \src1 
.endm

.macro _v_cmpx_ge_i32 dst, src0, src1=
   v_cmpx_ge_i32 \dst, \src0, \src1 
.endm

.macro _v_cmpx_ge_i64 dst, src0, src1=
   v_cmpx_ge_i64 \dst, \src0, \src1 
.endm

.macro _v_cmpx_ge_u16 dst, src0, src1=
   v_cmpx_ge_u16 \dst, \src0, \src1 
.endm

.macro _v_cmpx_ge_u32 dst, src0, src1=
   v_cmpx_ge_u32 \dst, \src0, \src1 
.endm

.macro _v_cmpx_ge_u64 dst, src0, src1=
   v_cmpx_ge_u64 \dst, \src0, \src1 
.endm

.macro _v_cmpx_o_i16 dst, src0, src1=
   v_cmpx_o_i16 \dst, \src0, \src1 
.endm

.macro _v_cmpx_o_i32 dst, src0, src1=
   v_cmpx_o_i32 \dst, \src0, \src1 
.endm

.macro _v_cmpx_o_i64 dst, src0, src1=
   v_cmpx_o_i64 \dst, \src0, \src1 
.endm

.macro _v_cmpx_o_u16 dst, src0, src1=
   v_cmpx_o_u16 \dst, \src0, \src1 
.endm

.macro _v_cmpx_o_u32 dst, src0, src1=
   v_cmpx_o_u32 \dst, \src0, \src1 
.endm

.macro _v_cmpx_o_u64 dst, src0, src1=
   v_cmpx_o_u64 \dst, \src0, \src1 
.endm

.macro _v_cmpx_u_i16 dst, src0, src1=
   v_cmpx_u_i16 \dst, \src0, \src1 
.endm

.macro _v_cmpx_u_i32 dst, src0, src1=
   v_cmpx_u_i32 \dst, \src0, \src1 
.endm

.macro _v_cmpx_u_i64 dst, src0, src1=
   v_cmpx_u_i64 \dst, \src0, \src1 
.endm

.macro _v_cmpx_u_u16 dst, src0, src1=
   v_cmpx_u_u16 \dst, \src0, \src1 
.endm

.macro _v_cmpx_u_u32 dst, src0, src1=
   v_cmpx_u_u32 \dst, \src0, \src1 
.endm

.macro _v_cmpx_u_u64 dst, src0, src1=
   v_cmpx_u_u64 \dst, \src0, \src1 
.endm
.macro _v_mac_f32 c:req, a:req, b:req
    v_fmac_f32 \c, \a, \b
.endmacro

/* scale global load macros */
.macro _s_load_b32 dst base offset
    s_load_dword \dst \base \offset
.endm

.macro _s_load_b64 dst base offset
    s_load_dwordx2 \dst \base \offset
.endm

.macro _s_load_b128 dst base offset
    s_load_dwordx4 \dst \base \offset
.endm

.macro _s_load_b256 dst base offset
    s_load_dwordx8 \dst \base \offset
.endm

.macro _s_load_b512 dst base offset
    s_load_dwordx16 \dst \base \offset
.endm


/* ds operation macros */
.macro _ds_load_u8 dst src offset
    ds_read_u8 \dst \src \offset
.endm

.macro _ds_load_u8_d16_hi dst src offset
    ds_read_u8_d16_hi \dst \src \offset
.endm

.macro _ds_load_u16 dst src offset
    ds_read_u16 \dst \src \offset
.endm

.macro _ds_load_u16_d16_hi dst src offset
    ds_read_u16_d16_hi \dst \src \offset
.endm

.macro _ds_load_b32 dst src offset
    ds_read_b32 \dst \src \offset
.endm

.macro _ds_load_b64 dst src offset
    ds_read_b64 \dst \src \offset
.endm

.macro _ds_load_b128 dst src offset
    ds_read_b128 \dst \src \offset
.endm

.macro _ds_store_b8 dst src offset
    ds_write_b8 \dst \src \offset
.endm

.macro _ds_store_b8_d16_hi dst src offset
    ds_write_b8_d16_hi \dst \src \offset
.endm

.macro _ds_store_b16 dst src offset
    ds_write_b16 \dst \src \offset
.endm

.macro _ds_store_b16_d16_hi dst src offset
    ds_write_b16_d16_hi \dst \src \offset
.endm

.macro _ds_store_b32 dst src offset
    ds_write_b32 \dst \src \offset
.endm

.macro _ds_store_b64 dst src offset
    ds_write_b64 \dst \src \offset
.endm

.macro _ds_store_b128 dst src offset
    ds_write_b128 \dst \src \offset
.endm

.macro _ds_load2_b32 dst src offset1 offset2
    ds_read2_b32 \dst \src \offset1 \offset2
.endm

.macro _ds_load2_b64 dst src offset1 offset2
    ds_read2_b64 \dst \src \offset1 \offset2
.endm

.macro _ds_store2_b32 dst src offset1 offset2
    ds_write2_b32 \dst \src \offset1 \offset2
.endm

.macro _ds_store2_b64 dst src offset1 offset2
    ds_write2_b64 \dst \src \offset1 \offset2
.endm


/* buffer memory operation macros */
.macro _buffer_load_b32 dst voffset base soffset offen ioffset md0 md1 md2
    buffer_load_dword \dst \voffset \base \soffset \offen \ioffset \md0 \md1 \md2
.endm

.macro _buffer_load_b64 dst voffset base soffset offen ioffset md0 md1 md2
    buffer_load_dwordx2 \dst \voffset \base \soffset \offen \ioffset \md0 \md1 \md2
.endm

.macro _buffer_load_b96 dst voffset base soffset offen ioffset md0 md1 md2
    buffer_load_dwordx3 \dst \voffset \base \soffset \offen \ioffset \md0 \md1 \md2
.endm

.macro _buffer_load_b128 dst voffset base soffset offen ioffset md0 md1 md2
    buffer_load_dwordx4 \dst \voffset \base \soffset \offen \ioffset \md0 \md1 \md2
.endm

.macro _buffer_load_d16_b16 dst voffset base soffset offen ioffset md0 md1 md2
    buffer_load_short_d16 \dst \voffset \base \soffset \offen \ioffset \md0 \md1 \md2
.endm

.macro _buffer_load_d16_hi_b16 dst voffset base soffset offen ioffset md0 md1 md2
    buffer_load_short_d16_hi \dst \voffset \base \soffset \offen \ioffset \md0 \md1 \md2
.endm

.macro _buffer_load_d16_u8 dst voffset base soffset offen ioffset md0 md1 md2
    buffer_load_ubyte_d16 \dst \voffset \base \soffset \offen \ioffset \md0 \md1 \md2
.endm

.macro _buffer_load_d16_hi_u8 dst voffset base soffset offen ioffset md0 md1 md2
    buffer_load_ubyte_d16_hi \dst \voffset \base \soffset \offen \ioffset \md0 \md1 \md2
.endm

.macro _buffer_load_u16 dst voffset base soffset offen ioffset md0 md1 md2
    buffer_load_ushort \dst \voffset \base \soffset \offen \ioffset \md0 \md1 \md2
.endm

.macro _buffer_load_b32_dtl voffset base soffset offen ioffset md0 md1 md2
    buffer_load_dword \voffset \base \soffset \offen \ioffset \md0 \md1 \md2
.endm

.macro _buffer_load_b64_dtl voffset base soffset offen ioffset md0 md1 md2
    buffer_load_dwordx2 \voffset \base \soffset \offen \ioffset \md0 \md1 \md2
.endm

.macro _buffer_load_b128_dtl voffset base soffset offen ioffset md0 md1 md2
    buffer_load_dwordx4 \voffset \base \soffset \offen \ioffset \md0 \md1 \md2
.endm

.macro _buffer_load_u16_dtl voffset base soffset offen ioffset md0 md1 md2
    buffer_load_ushort \voffset \base \soffset \offen \ioffset \md0 \md1 \md2
.endm

.macro _buffer_store_b32 src voffset base soffset offen ioffset md0 md1 md2
    buffer_store_dword \src \voffset \base \soffset \offen \ioffset \md0 \md1 \md2
.endm

.macro _buffer_store_b64 src voffset base soffset offen ioffset md0 md1 md2
    buffer_store_dwordx2 \src \voffset \base \soffset \offen \ioffset \md0 \md1 \md2
.endm

.macro _buffer_store_b96 src voffset base soffset offen ioffset md0 md1 md2
    buffer_store_dwordx3 \src \voffset \base \soffset \offen \ioffset \md0 \md1 \md2
.endm

.macro _buffer_store_b128 src voffset base soffset offen ioffset md0 md1 md2
    buffer_store_dwordx4 \src \voffset \base \soffset \offen \ioffset \md0 \md1 \md2
.endm

.macro _buffer_store_b16 src voffset base soffset offen ioffset md0 md1 md2
    buffer_store_short \src \voffset \base \soffset \offen \ioffset \md0 \md1 \md2
.endm

.macro _buffer_store_d16_hi_b16 src voffset base soffset offen ioffset md0 md1 md2
    buffer_store_short_d16_hi \src \voffset \base \soffset \offen \ioffset \md0 \md1 \md2
.endm

.macro _buffer_store_b8 src voffset base soffset offen ioffset md0 md1 md2
    buffer_store_byte \src \voffset \base \soffset \offen \ioffset \md0 \md1 \md2
.endm

.macro _buffer_store_d16_hi_b8 src voffset base soffset offen ioffset md0 md1 md2
    buffer_store_byte_d16_hi \src \voffset \base \soffset \offen \ioffset \md0 \md1 \md2
.endm

.macro _buffer_atomic_cmpswap_b32 dst voffset base soffset offen ioffset md0 md1 md2
    buffer_atomic_cmpswap \dst \voffset \base \soffset \offen \ioffset \md0 \md1 \md2
.endm

.macro _buffer_atomic_cmpswap_b64 dst voffset base soffset offen ioffset md0 md1 md2
    buffer_atomic_cmpswap_x2 \dst \voffset \base \soffset \offen \ioffset \md0 \md1 \md2
.endm


/* buffer memory operation macros */
.macro _global_load_b32 dst base src ioffset md0 md1 md2
    global_load_dword \dst \base \src \ioffset \md0 \md1 \md2
.endm

.macro _global_load_b64 dst base src ioffset md0 md1 md2
    global_load_dwordx2 \dst \base \src \ioffset \md0 \md1 \md2
.endm

.macro _global_load_b96 dst base src ioffset md0 md1 md2
    global_load_dwordx3 \dst \base \src \ioffset \md0 \md1 \md2
.endm

.macro _global_load_b128 dst base src ioffset md0 md1 md2
    global_load_dwordx4 \dst \base \src \ioffset \md0 \md1 \md2
.endm

.macro _global_load_d16_b16 dst base src ioffset md0 md1 md2
    global_load_short_d16 \dst \base \src \ioffset \md0 \md1 \md2
.endm

.macro _global_load_d16_hi_b16 dst base src ioffset md0 md1 md2
    global_load_short_d16_hi \dst \base \src \ioffset \md0 \md1 \md2
.endm

.macro _global_load_d16_u8 dst base src ioffset md0 md1 md2
    global_load_ubyte_d16 \dst \base \src \ioffset \md0 \md1 \md2
.endm

.macro _global_load_d16_hi_u8 dst base src ioffset md0 md1 md2
    global_load_ubyte_d16_hi \dst \base \src \ioffset \md0 \md1 \md2
.endm

.macro _global_load_u16 dst base src ioffset md0 md1 md2
    global_load_ushort \dst \base \src \ioffset \md0 \md1 \md2
.endm

.macro _global_store_b32 base src src2 md0 md1 md2
    global_store_dword \base \src \src2 \md0 \md1 \md2
.endm

.macro _global_store_b64 base src src2 md0 md1 md2
    global_store_dwordx2 \base \src \src2 \md0 \md1 \md2
.endm

.macro _global_store_b96 base src src2 md0 md1 md2
    global_store_dwordx3 \base \src \src2 \md0 \md1 \md2
.endm

.macro _global_store_b128 base src src2 md0 md1 md2
    global_store_dwordx4 \base \src \src2 \md0 \md1 \md2
.endm

.macro _global_store_d16_b16 base src src2 md0 md1 md2
    global_store_short \base \src \src2 \md0 \md1 \md2
.endm

.macro _global_store_d16_hi_b16 base src src2 md0 md1 md2
    global_store_short_d16_hi \base \src \src2 \md0 \md1 \md2
.endm

.macro _global_store_d16_u8 base src src2 md0 md1 md2
    global_store_ubyte_d16 \base \src \src2 \md0 \md1 \md2
.endm

.macro _global_store_d16_hi_u8 base src src2 md0 md1 md2
    global_store_ubyte_d16_hi \base \src \src2 \md0 \md1 \md2
.endm

.macro _global_store_u16 base src src2 md0 md1 md2
    global_store_ushort \base \src \src2 \md0 \md1 \md2
.endm

.macro _global_atomic_cmpswap_b32 tmp base data src ioffset md
    global_atomic_cmpswap \tmp \base \data \src \ioffset \md
.endm

.macro _global_atomic_cmpswap_b64 tmp base data src ioffset md
    global_atomic_cmpswap_x2 \tmp \base \data \src \ioffset \md
.endm


/******************************************/
/* Magic div and mod functions            */
/******************************************/
.macro V_MAGIC_DIV dstIdx:req, dividend:req, magicNumber:req, magicShift:req, magicA:req
    v_mul_hi_u32 v[\dstIdx+1], \dividend, \magicNumber
    v_mul_lo_u32 v[\dstIdx+0], \dividend, \magicA
    _v_add_u32 v[\dstIdx+0], v[\dstIdx+0], v[\dstIdx+1]
    v_lshrrev_b32 v[\dstIdx+0], \magicShift, v[\dstIdx+0]
.endm

/******************************************/
/* VGPR Assignments                       */
/******************************************/
/* ValuC range: [0-0), serializedStore enabled */
.set vgprValuC, 0
/* ValuA/B   Xn=PLR buffer idx,  In=InnerUnroll idx */
.set vgprValuA_X0_I0, 0
.set vgprValuA_X1_I0, 4
.set vgprG2LA, 36
.set vgprValuB_X0_I0, 8
.set vgprValuB_X1_I0, 16
.set vgprG2LB, 44
.set vgprLocalWriteAddrA, 24
.set vgprLocalWriteAddrB, 25
.set vgprGlobalReadAddrA, 26
.set vgprGlobalReadAddrB, 30
.set vgprGlobalReadIncsA, 32
.set vgprGlobalReadIncsB, 34
.set vgprLocalReadAddrA, 48
.set vgprLocalReadAddrB, 49
.set vgprSerial, 50
/* Num VGPR=64 */
/* Num AccVGPR=64 */

/******************************************/
/* SGPR Assignments                       */
/******************************************/
.set sgprKernArgAddress, 0 // (2)
.set sgprWorkGroup0, 2 // (1)
.set sgprWorkGroup1, 3 // (1)
.set sgprWorkGroup2, 4 // (1)
.set sgprLoopCounterL, 5 // (1)
.set sgprOrigLoopCounter, 6 // (1)
.set sgprTensor2dSizeA, 8 // (2)
.set sgprTensor2dSizeB, 10 // (2)
.set sgprAddressD, 12 // (2)
.set sgprAddressC, 14 // (2)
.set sgprAddressA, 16 // (2)
.set sgprAddressB, 18 // (2)
.set sgprOffsetD, 20 // (2)
.set sgprOffsetC, 22 // (2)
.set sgprOffsetA, 24 // (2)
.set sgprOffsetB, 26 // (2)
.set sgprAlpha, 28 // (2)
.set sgprBeta, 30 // (2)
.set sgprStridesD, 32 // (2)
.set sgprStridesC, 34 // (2)
.set sgprStridesA, 36 // (2)
.set sgprStridesB, 38 // (2)
.set sgprSizesFree, 40 // (3)
.set sgprSizesSum, 43 // (1)
.set sgprNumWorkGroups0, 44 // (1)
.set sgprNumWorkGroups1, 45 // (1)
.set sgprNumFullBlocks, 46 // (1)
.set sgprWgmRemainder1, 47 // (1)
.set sgprMagicNumberWgmRemainder1, 48 // (1)
/* max SGPR=52 */

/* Size Assignments */
.set sgprSizeI, sgprSizesFree+0
.set sgprSizeJ, sgprSizesFree+1
.set sgprSizeK, sgprSizesFree+2
.set sgprSizeL, sgprSizesSum+0

/* Stride Assignments */
.set constStrideD0I, 1
.set sgprStrideD1J, sgprStridesD+0
.set sgprStrideDK, sgprStridesD+1
.set constStrideC0I, 1
.set sgprStrideC1J, sgprStridesC+0
.set sgprStrideCK, sgprStridesC+1
.set constStrideAL, 1
.set sgprStrideA0I, sgprStridesA+0
.set sgprStrideAK, sgprStridesA+1
.set constStrideB1J, 1
.set sgprStrideBL, sgprStridesB+0
.set sgprStrideBK, sgprStridesB+1

.set MT0, 128
.set MT1, 64
.set DepthU, 8
.set GSU, 1
.set BpeA, 8
.set BpeALog2, 3
.set BpeB, 8
.set BpeBLog2, 3
/* Number of elements to shift-left SRD */
.set SrdShiftLeftA, 2
.set SrdShiftLeftB, 2

/* Global Offset D */
.macro GLOBAL_OFFSET_D vgprAddr:req vgprOffset0I:req vgprOffset1J:req vgprTmp:req
v_mul_lo_u32 v[\vgprTmp+0], s[sgprStrideD1J], v[\vgprOffset1J] // mul d1 lower
v_mul_hi_u32 v[\vgprTmp+1], s[sgprStrideD1J], v[\vgprOffset1J] // mul d1 upper
_v_add_co_u32 v[\vgprAddr+0], vcc, v[\vgprOffset0I], v[\vgprTmp+0] // accumulate K lower
_v_addc_co_u32 v[\vgprAddr+1], vcc, v[\vgprTmp+1], 0, vcc // accumulate K upper
v_lshlrev_b64 v[\vgprAddr+0:\vgprAddr+1], 0x3, v[\vgprAddr+0:\vgprAddr+1] // offset *= bytes/element
.endm

/* Global Offset C */
.macro GLOBAL_OFFSET_C vgprAddr:req vgprOffset0I:req vgprOffset1J:req vgprTmp:req
v_mul_lo_u32 v[\vgprTmp+0], s[sgprStrideC1J], v[\vgprOffset1J] // mul d1 lower
v_mul_hi_u32 v[\vgprTmp+1], s[sgprStrideC1J], v[\vgprOffset1J] // mul d1 upper
_v_add_co_u32 v[\vgprAddr+0], vcc, v[\vgprOffset0I], v[\vgprTmp+0] // accumulate K lower
_v_addc_co_u32 v[\vgprAddr+1], vcc, v[\vgprTmp+1], 0, vcc // accumulate K upper
v_lshlrev_b64 v[\vgprAddr+0:\vgprAddr+1], 0x3, v[\vgprAddr+0:\vgprAddr+1] // offset *= bytes/element
.endm

/* Global Offset A */
.macro GLOBAL_OFFSET_A vgprAddr:req vgprOffsetL:req vgprOffset0I:req vgprTmp:req
v_mul_lo_u32 v[\vgprTmp+0], s[sgprStrideA0I], v[\vgprOffset0I] // mul d1 lower
v_mul_hi_u32 v[\vgprTmp+1], s[sgprStrideA0I], v[\vgprOffset0I] // mul d1 upper
_v_add_co_u32 v[\vgprAddr+0], vcc, v[\vgprOffsetL], v[\vgprTmp+0] // accumulate K lower
_v_addc_co_u32 v[\vgprAddr+1], vcc, v[\vgprTmp+1], 0, vcc // accumulate K upper
v_lshlrev_b64 v[\vgprAddr+0:\vgprAddr+1], 0x3, v[\vgprAddr+0:\vgprAddr+1] // offset *= bytes/element
.endm

/* Global Offset B */
.macro GLOBAL_OFFSET_B vgprAddr:req vgprOffset1J:req vgprOffsetL:req vgprTmp:req
v_mul_lo_u32 v[\vgprTmp+0], s[sgprStrideBL], v[\vgprOffsetL] // mul d1 lower
v_mul_hi_u32 v[\vgprTmp+1], s[sgprStrideBL], v[\vgprOffsetL] // mul d1 upper
_v_add_co_u32 v[\vgprAddr+0], vcc, v[\vgprOffset1J], v[\vgprTmp+0] // accumulate K lower
_v_addc_co_u32 v[\vgprAddr+1], vcc, v[\vgprTmp+1], 0, vcc // accumulate K upper
v_lshlrev_b64 v[\vgprAddr+0:\vgprAddr+1], 0x3, v[\vgprAddr+0:\vgprAddr+1] // offset *= bytes/element
.endm

/******************************************/
/* Dynamic Scalar Divide: vQuotient=vDividend/vDivisor; vRemainder=vDividend%vDivisor; */
/******************************************/
.macro DYNAMIC_VECTOR_DIVIDE vQuotient vRemainder vDividend vDivisor vTmp0 vTmp1 sTmp
v_cvt_f32_u32 v[\vQuotient], v[\vDivisor]          // 
v_rcp_f32 v[\vQuotient], v[\vQuotient]             // 
v_mul_f32 v[\vQuotient], 0x4f800000, v[\vQuotient] // 
v_cvt_u32_f32 v[\vQuotient], v[\vQuotient]         // 
v_mul_lo_u32 v[\vRemainder], v[\vDivisor], v[\vQuotient] // 
v_mul_hi_u32 v[\vTmp0], v[\vDivisor], v[\vQuotient] // 
_v_sub_co_u32 v[\vTmp1], vcc, 0x0, v[\vRemainder]  // 
v_cmp_ne_i32 s[\sTmp:\sTmp+1], 0x0, v[\vTmp0]      // 
v_cndmask_b32 v[\vRemainder], v[\vTmp1], v[\vRemainder], s[\sTmp:\sTmp+1] // 
v_mul_hi_u32 v[\vRemainder], v[\vRemainder], v[\vQuotient] // 
_v_sub_co_u32 v[\vTmp0], vcc, v[\vQuotient], v[\vRemainder] // 
_v_add_co_u32 v[\vQuotient], vcc, v[\vQuotient], v[\vRemainder] // 
v_cndmask_b32 v[\vQuotient], v[\vQuotient], v[\vTmp0], s[\sTmp:\sTmp+1] // 
v_mul_hi_u32 v[\vQuotient], v[\vQuotient], v[\vDividend] // 
v_mul_lo_u32 v[\vRemainder], v[\vQuotient], v[\vDivisor] // 
_v_sub_co_u32 v[\vTmp0], vcc, v[\vDividend], v[\vRemainder] // 
v_cmp_ge_u32 s[\sTmp:\sTmp+1], v[\vDividend], v[\vRemainder] // 
_v_add_co_u32 v[\vRemainder], vcc, 0x1, v[\vQuotient] // 
_v_add_co_u32 v[\vTmp1], vcc, -1, v[\vQuotient]    // 
v_cmp_le_u32 vcc, v[\vDivisor], v[\vTmp0]          // 
s_and_b64 vcc, s[\sTmp:\sTmp+1], vcc               // 
v_cndmask_b32 v[\vQuotient], v[\vQuotient], v[\vRemainder], vcc // 
v_cndmask_b32 v[\vQuotient], v[\vTmp1], v[\vQuotient], s[\sTmp:\sTmp+1] // 
v_cmp_ne_i32 vcc, 0x0, v[\vDivisor]                // 
v_cndmask_b32 v[\vQuotient], -1, v[\vQuotient], vcc // final result
v_mul_lo_u32 v[\vRemainder], v[\vQuotient], v[\vDivisor] // 
_v_sub_co_u32 v[\vRemainder], vcc, v[\vDividend], v[\vRemainder] // final result
.endm


	;; [unrolled: 1-line block ×3, first 2 shown]
/******************************************/
/* Allocate Resources                     */
/******************************************/

Cijk_AlikC_Bjlk_CB_GB_MT128x64x8_MI16x16x4x1_SN_1LDSB1_APM1_ABV0_ACED0_AF0EM1_AF1EM1_AMAS3_ASE_ASGT_ASLT_ASEM1_AAC0_BL0_BS0_CLR0_DTVA0_DVO0_ETSP_EPS0_EMLL0_FL0_GLVWA2_GLVWB2_GRPM1_GRVW2_GSU1_GSUASB_GLS0_ISA90a_IU1_K1_KLA_LBSPPA0_LBSPPB0_LPA2_LPB0_LDL1_LRVW1_LWPMn1_LDW0_FMA_MIAV0_MO40_MMFGLC_NTA0_NTB0_NTC0_NTD0_NEPBS2_NLCA1_NLCB1_ONLL1_OPLV0_PK0_PAP0_PGR2_PLR3_SIA3_SS1_SU0_SUM0_SUS0_SCIUI1_SPO0_SRVW0_SSO0_SVW2_SNLL0_TSGRA0_TSGRB0_TT2_64_TLDS0_UMLDSA0_UMLDSB0_USFGROn1_VAW1_VSn1_VW2_VWB1_VFLRP0_WSGRA0_WSGRB0_WG64_4_1_WGM8_preloaded: // Kernel start when preloading

/* Load Kernel Args */
_s_load_b512 s[8:23], s[sgprKernArgAddress:sgprKernArgAddress+1], 0x0 // 
_s_load_b512 s[24:39], s[sgprKernArgAddress:sgprKernArgAddress+1], 0x40 // 
_s_load_b256 s[40:47], s[sgprKernArgAddress:sgprKernArgAddress+1], 0x80 // 
_s_load_b32 s48, s[sgprKernArgAddress:sgprKernArgAddress+1], 0xa0 // 
s_mov_b32 m0, 0x3100                               // LDS clamp at 12544 bytes
v_mov_b32 v[vgprSerial], v0                        // thread serial id

/******************************************/
/* Local Read Addresses                   */
/******************************************/


/* local read addresses: tile assignments a/b */

/*lr0I*/
v_and_b32 v1, 63, v[vgprSerial]                    // 0. thread id in wave: wtid = tid % wavelength(64)
v_and_b32 v0, 15, v1                               // 1. N offset: nIdx = wtid % MI_N(16)
                                                   // 1. N offset: nOffset = nIdx * nStride(1) (multiplier is 1, do nothing)
                                                   // 2. block offset: bnIdx = bnIdx % num1DBlocks(1) is 0. do nothing
v_lshlrev_b32 v0, 0x1, v0                          // 4. apply VectorWidth: bnOffset = bnOffset * vw(2)
v_lshrrev_b32 v1, 4, v1                            // 5. K offset: kIdx = wtid / (MIN(16) * MIBB(1))
s_mov_b32 s7, 0x82                                 // 5. K offset: lrKOffset = kIdx * mStride(130)
v_mul_lo_u32 v1, s7, v1                            // 5. K offset: lrKOffset = kIdx * mStride(130)
_v_add_u32 v0, v1, v0                              // 6. offset in wave: lrOffset = bnOffset + lrKOffset
v_lshrrev_b32 v2, 6, v[vgprSerial]                 // 7. wave offset in N dimen: wtid = tid / dividedForWaveId(64)
v_and_b32 v1, 3, v2                                // 7. wave offset in M dimen: wtid0 = wtid / num1DWaves(4)
v_lshlrev_b32 v1, 0x5, v1                          // 7. wave offset in M dimen: wOffset = wtid0 * W0Stride(32)
_v_add_u32 v0, v1, v0                              // 8. final local read offset: flrOffset = lrOffset + WOffset
/*lr1J*/
v_and_b32 v2, 63, v[vgprSerial]                    // 0. thread id in wave: wtid = tid % wavelength(64)
v_and_b32 v1, 15, v2                               // 1. N offset: nIdx = wtid % MI_N(16)
                                                   // 1. N offset: nOffset = nIdx * nStride(1) (multiplier is 1, do nothing)
                                                   // 2. block offset: bnIdx = bnIdx % num1DBlocks(1) is 0. do nothing
                                                   // 4. apply VectorWidth: bnOffset = bnOffset * vw(1) (multiplier is 1, do nothing)
v_lshrrev_b32 v2, 4, v2                            // 5. K offset: kIdx = wtid / (MIN(16) * MIBB(1))
v_lshlrev_b32 v2, 0x6, v2                          // 5. K offset: lrKOffset = kIdx * mStride(64)
_v_add_u32 v1, v2, v1                              // 6. offset in wave: lrOffset = bnOffset + lrKOffset


/* local read addresses: final offsets a */

v_lshlrev_b32 v[vgprLocalReadAddrA], 0x3, v0       // Final Offset: offset = (lro0)*bpe


/* local read addresses: final offsets b */

v_lshlrev_b32 v[vgprLocalReadAddrB], 0x3, v1       // Final Offset: offset = (lro1)*bpe


/* local read addresses: declare addresses a */

/* N/A */


/* local read addresses: declare addresses b */

_v_add_co_u32 v[vgprLocalReadAddrB+0], vcc, 0x2100, v[vgprLocalReadAddrB+0] //  += LdsOffsetB (lower)
s_waitcnt lgkmcnt(0)                               // wait for 164 bytes of kern args

s_mul_i32 s50, s[sgprWorkGroup2], 8                // offset of global buffer address
_s_load_b64 s[sgprAddressD:sgprAddressD+1], s[sgprAddressD:sgprAddressD+1], s50 // load global buffer D address
v_cmp_eq_f32 s[50:51], s[sgprBeta], 0.0            // Beta.real == 0.0f ?
v_cmp_eq_f32 vcc, s[sgprBeta+1], 0.0               // Beta.imag == 0.0f ?
s_and_b64 s[50:51], vcc, s[50:51]                  // Beta == 0 ?
s_cmp_eq_u64 s[50:51], 0x0                         // branch if beta == 0
s_cbranch_scc0 label_skip_c_buffer_deref_WorkGroup2_10 // branch if beta == 0
s_mul_i32 s50, s[sgprWorkGroup2], 8                // offset of global buffer address
_s_load_b64 s[sgprAddressC:sgprAddressC+1], s[sgprAddressC:sgprAddressC+1], s50 // load global buffer C address
label_skip_c_buffer_deref_WorkGroup2_10: // 
s_mov_b32 s50, 0x1                                 // check summation size
s_mul_i32 s50, s[sgprSizesSum+0], s50              // check summation size
s_cmp_eq_u32 s50, 0x0                              // skip buffer deref is size of summation is 0
s_cbranch_scc1 label_skip_ab_buffer_deref_WorkGroup2_11 // skip buffer deref is size of summation is 0
v_cmp_eq_f32 s[50:51], s[sgprAlpha], 0.0           // Alpha.real == 0.0f ?
v_cmp_eq_f32 vcc, s[sgprAlpha+1], 0.0              // Alpha.imag == 0.0f ?
s_and_b64 s[50:51], vcc, s[50:51]                  // Alpha == 0 ?
s_cmp_eq_u64 s[50:51], 0x0                         // branch if alpha == 0
s_cbranch_scc0 label_skip_ab_buffer_deref_WorkGroup2_11 // branch if alpha == 0
s_mul_i32 s50, s[sgprWorkGroup2], 8                // offset of global buffer address
_s_load_b64 s[sgprAddressA:sgprAddressA+1], s[sgprAddressA:sgprAddressA+1], s50 // load global buffer A address
_s_load_b64 s[sgprAddressB:sgprAddressB+1], s[sgprAddressB:sgprAddressB+1], s50 // load global buffer B address
label_skip_ab_buffer_deref_WorkGroup2_11: // 
s_waitcnt lgkmcnt(0)                               // wait global buffer address ready
s_lshl_b64 s[sgprOffsetD:sgprOffsetD+1], s[sgprOffsetD:sgprOffsetD+1], 0x3 // elements offset to bytes offset
s_add_u32 s[sgprAddressD+0], s[sgprAddressD+0], s[sgprOffsetD] // add offset to buffer address
s_addc_u32 s[sgprAddressD+1], s[sgprAddressD+1], s[sgprOffsetD+1] // add offset to buffer address
s_lshl_b64 s[sgprOffsetC:sgprOffsetC+1], s[sgprOffsetC:sgprOffsetC+1], 0x3 // elements offset to bytes offset
s_add_u32 s[sgprAddressC+0], s[sgprAddressC+0], s[sgprOffsetC] // add offset to buffer address
s_addc_u32 s[sgprAddressC+1], s[sgprAddressC+1], s[sgprOffsetC+1] // add offset to buffer address
s_lshl_b64 s[sgprOffsetA:sgprOffsetA+1], s[sgprOffsetA:sgprOffsetA+1], 0x3 // elements offset to bytes offset
s_add_u32 s[sgprAddressA+0], s[sgprAddressA+0], s[sgprOffsetA] // add offset to buffer address
s_addc_u32 s[sgprAddressA+1], s[sgprAddressA+1], s[sgprOffsetA+1] // add offset to buffer address
s_lshl_b64 s[sgprOffsetB:sgprOffsetB+1], s[sgprOffsetB:sgprOffsetB+1], 0x3 // elements offset to bytes offset
s_add_u32 s[sgprAddressB+0], s[sgprAddressB+0], s[sgprOffsetB] // add offset to buffer address
s_addc_u32 s[sgprAddressB+1], s[sgprAddressB+1], s[sgprOffsetB+1] // add offset to buffer address

.set OffsetD, UNDEF
.set OffsetC, UNDEF
.set OffsetA, UNDEF
.set OffsetB, UNDEF

/* Short circuit condition if Alpha == 0, then sumDims=0 */
v_cmp_eq_f32 vcc, s[sgprAlpha], 0.0                // Alpha.real == 0.0f ?
s_cbranch_vccz label_AlphaNonZero                  // branch if Alpha.real != 0
v_cmp_eq_f32 vcc, s[sgprAlpha+1], 0.0              // Alpha.imag == 0.0f ?
s_cbranch_vccz label_AlphaNonZero                  // branch if Alpha.imag != 0
s_mov_b32 s[sgprSizesSum+0], 0x0                   // Set summation dim=0 if Alpha == 0
label_AlphaNonZero:


	;; [unrolled: 1-line block ×3, first 2 shown]
/******************************************/
/* Begin setupNewTile, isPap=False           */
/******************************************/


/* global read addresses: work-group */

/* graWorkGroup mapping */
s_mov_b32 s23, 0x10000001L                         // magic number for WGM==8
s_mul_hi_u32 s21, s[sgprWorkGroup1], s23           // s_magic mul
s_mul_i32 s20, s[sgprWorkGroup1], s23              // s_magic mul
s_lshr_b64 s[20:21], s[20:21], 31                  // sMagicDiv
s_mul_i32 s21, s20, 8                              // quotient * non-magic divisor
s_sub_u32 s21, s[sgprWorkGroup1], s21              // WorkGroup1=remainder
s_mul_i32 s21, s21, s[sgprNumWorkGroups0]          // (wg1 % WGM)*nwg0
s_add_u32 s21, s21, s[sgprWorkGroup0]              // wgSerial = wg0 + (wg1 % WGM)*nwg1
s_cmp_ge_u32 s20, s[sgprNumFullBlocks]             // blockId >= numFullBlocks ?
s_cmov_b32 s23, s[sgprMagicNumberWgmRemainder1]    // 
s_cselect_b32 s22, s[sgprWgmRemainder1], 8         // 
s_mul_hi_u32 s3, s21, s23                          // s_magic mul
s_mul_i32 s2, s21, s23                             // s_magic mul
s_lshr_b64 s[2:3], s[2:3], 31                      // sMagicDiv
s_mul_i32 s[sgprWorkGroup1], s[sgprWorkGroup0], s22 // quotient * non-magic divisor
s_sub_u32 s[sgprWorkGroup1], s21, s[sgprWorkGroup1] // WorkGroup1=remainder
s_mul_i32 s20, s20, 8                              // blockId * WGM
s_add_u32 s[sgprWorkGroup1], s[sgprWorkGroup1], s20 // wg1 += blockId * WGM


/* global read addresses: tile offset assignment a */

/* LVCA = 4 */
/* v2 = groA-tile = serial/LVCA + (wgA*MTA) */
/* v1 = groA-unroll = serial%LVCA */
v_lshrrev_b32 v0, 2, v[vgprSerial]                 // v0 = v[vgprSerial] / 4
v_and_b32 v1, 3, v[vgprSerial]                     // v1 = v[vgprSerial] % 4
/* gro-unroll *= glvw */
v_lshlrev_b32 v1, 0x1, v1                          // v1 = v1 * 2
v_lshlrev_b32 v3, 0x7, s[sgprWorkGroup0]           // v3 = s[sgprWorkGroup0] * 128
_v_add_co_u32 v2, vcc, v3, v0                      // groA-tile = serial/LVCA*VW + (wgA*MTA)


/* global read addresses: tile offset assignment b */

/* LVCB = 32 */
/* v5 = groB-tile = serial%LVCB + (wgB*MTB) */
/* v4 = groB-unroll = serial/LVCB */
v_lshrrev_b32 v4, 5, v[vgprSerial]                 // v4 = v[vgprSerial] / 32
v_and_b32 v3, 31, v[vgprSerial]                    // v3 = v[vgprSerial] % 32
/* gro-tile *= glvw */
v_lshlrev_b32 v3, 0x1, v3                          // v3 = v3 * 2
v_lshlrev_b32 v6, 0x6, s[sgprWorkGroup1]           // v6 = s[sgprWorkGroup1] * 64
_v_add_co_u32 v5, vcc, v6, v3                      // groB-tile = serial%LVCB*VW + (wgB*MTB)


/* global read addresses: unroll assignment a */

/* v1 */


/* global read addresses: unroll assignment b */

/* v4 */


/* global read addresses: other free assignments */

/* s[sgprWorkGroup2] */


/* global read addresses: tile offsets a */

v_mov_b32 v6, v2                                   // groA0I_0
_v_add_co_u32 v7, vcc, 64, v6                      // groA0I_1 += LSPA


/* global read addresses: tile offsets b */

v_mov_b32 v2, v5                                   // groB1J_0


/* global read addresses: unroll offsets a */

v_mov_b32 v5, v1                                   // groAL_0


/* global read addresses: unroll offsets b */

v_mov_b32 v8, v4                                   // groBL_0


/* global read addresses: shift a */

s_sub_u32 s7, s[sgprSizeI], 1                      // edge = Size0I-1
v_mov_b32 v9, s7                                   // edge vgpr = Size0I-1
v_cmp_lt_u32 s[20:21], v6, v9                      // shiftedOffset < shiftedEdge
v_cndmask_b32 v6, v9, v6, s[20:21]                 // offset = (offset < edge) ? offset(v6) : edge(v9)
v_cmp_lt_u32 s[20:21], v7, v9                      // shiftedOffset < shiftedEdge
v_cndmask_b32 v7, v9, v7, s[20:21]                 // offset = (offset < edge) ? offset(v7) : edge(v9)


/* global read addresses: shift b */

s_sub_u32 s7, s[sgprSizeJ], 2                      // edge = Size1J-2
v_mov_b32 v9, s7                                   // edge vgpr = Size1J-2
v_cmp_lt_u32 s[20:21], v2, v9                      // shiftedOffset < shiftedEdge
v_cndmask_b32 v2, v9, v2, s[20:21]                 // offset = (offset < edge) ? offset(v2) : edge(v9)


/* global read addresses: final offsets a */

GLOBAL_OFFSET_A vgprGlobalReadAddrA+0,  5,  6, 9 // gROA_0_0_0_0
GLOBAL_OFFSET_A vgprGlobalReadAddrA+2,  5,  7, 9 // gROA_0_0_1_0


/* global read addresses: final offsets b */

GLOBAL_OFFSET_B vgprGlobalReadAddrB+0,  2,  8, 5 // gROB_0_0_0_0


/* global read addresses: addresses a */

v_mov_b32 v5, s[sgprAddressA+0]                    // 
v_mov_b32 v6, s[sgprAddressA+1]                    // 
_v_add_co_u32 v[vgprGlobalReadAddrA+0+0], vcc, v[vgprGlobalReadAddrA+0+0], v5 // gRAA_0_0_0_0 = addrA+grOA_0_0_0_0 (lower)
_v_addc_co_u32 v[vgprGlobalReadAddrA+0+1], vcc, v[vgprGlobalReadAddrA+0+1], v6, vcc // gRAA_0_0_0_0 = addrA+grOA_0_0_0_0 (upper)
_v_add_co_u32 v[vgprGlobalReadAddrA+2+0], vcc, v[vgprGlobalReadAddrA+2+0], v5 // gRAA_0_0_1_0 = addrA+grOA_0_0_1_0 (lower)
_v_addc_co_u32 v[vgprGlobalReadAddrA+2+1], vcc, v[vgprGlobalReadAddrA+2+1], v6, vcc // gRAA_0_0_1_0 = addrA+grOA_0_0_1_0 (upper)


/* global read addresses: addresses b */

v_mov_b32 v5, s[sgprAddressB+0]                    // 
v_mov_b32 v6, s[sgprAddressB+1]                    // 
_v_add_co_u32 v[vgprGlobalReadAddrB+0+0], vcc, v[vgprGlobalReadAddrB+0+0], v5 // gRAB_0_0_0_0 = addrB+grOB_0_0_0_0 (lower)
_v_addc_co_u32 v[vgprGlobalReadAddrB+0+1], vcc, v[vgprGlobalReadAddrB+0+1], v6, vcc // gRAB_0_0_0_0 = addrB+grOB_0_0_0_0 (upper)


/* global read addresses: increments a */

s_mul_i32 s20, DepthU*8, constStrideAL             // incrAL = constStrideAL*DepthU*bpe (unrollIdx)
s_mov_b32 s21, 0x0                                 // (carry)
v_mov_b32 v[vgprGlobalReadIncsA+0+0], s20          // 
v_mov_b32 v[vgprGlobalReadIncsA+0+1], s21          // 


/* global read addresses: increments b */

s_mul_i32 s20, DepthU*8, s[sgprStrideBL]           // incrBL = s[sgprStrideBL]*DepthU*bpe (unrollIdx)
s_mov_b32 s21, 0x0                                 // (carry)
v_mov_b32 v[vgprGlobalReadIncsB+0+0], s20          // 
v_mov_b32 v[vgprGlobalReadIncsB+0+1], s21          // 


/******************************************/
/* Local Write Addresses                  */
/******************************************/

/* lwaTileAssignmentA = v0 */

/* lwaTileAssignmentB = v3 */

/* lwaUnrollAssignmentA = v1 */

/* lwaUnrollAssignmentB = v4 */


/* local write addresses: first offset a */

v_mul_u32_u24 v[vgprLocalWriteAddrA], 0x82, v1     // lwAL**(MTA + PAD)
_v_add_lshl_u32 v[vgprLocalWriteAddrA], v0, v[vgprLocalWriteAddrA], 0x3 // lwFOA = (lwAA + lwAL*(MT0I+PAD))*bpe


/* local write addresses: first offset b */

v_mul_u32_u24 v[vgprLocalWriteAddrB], 0x40, v4     // lwBL**(MTB + PAD)
_v_add_lshl_u32 v[vgprLocalWriteAddrB], v3, v[vgprLocalWriteAddrB], 0x3 // lwFOB = (lwBB + lwBL*(MT1J+PAD))*bpe
_v_add_co_u32 v[vgprLocalWriteAddrB], vcc, 0x2100, v[vgprLocalWriteAddrB] // lwFOB = lwB1J + lwBL*MT1J + LDS_OFFSET_B=1056*8


	;; [unrolled: 1-line block ×7, first 2 shown]
/* declare loop num iterations */


s_lshr_b32 s[sgprLoopCounterL], s[sgprSizesSum+0], 3 // s[sgprLoopCounterL] = s[sgprSizesSum+0] / 8
s_mov_b32 s[sgprOrigLoopCounter], s[sgprLoopCounterL] // copy loop counter

/* local read addresses: init pointers a */


/* localReadInitPointers */

/* local read addresses: init pointers b */


/* localReadInitPointers */


/* prefetch: global -> local */

s_cmp_eq_u32 s[sgprLoopCounterL], 0                // at last iteration?
s_cbranch_scc1 ShadowInitStart_12                  // skip to ShadowInitStart iter b/c numIter==0


_global_load_b128 v[vgprG2LA+0:vgprG2LA+0+3], v[vgprGlobalReadAddrA+0:vgprGlobalReadAddrA+0+1], off, offset:0 // G -> Reg 0_0_0_0
_global_load_b128 v[vgprG2LA+4:vgprG2LA+4+3], v[vgprGlobalReadAddrA+2:vgprGlobalReadAddrA+2+1], off, offset:0 // G -> Reg 0_0_1_0


_global_load_b128 v[vgprG2LB+0:vgprG2LB+0+3], v[vgprGlobalReadAddrB+0:vgprGlobalReadAddrB+0+1], off, offset:0 // G -> Reg 0_0_0_0


/* global read inc A loopL */
_v_add_co_u32  v[vgprGlobalReadAddrA+0+0], vcc, v[vgprGlobalReadAddrA+0+0], v[vgprGlobalReadIncsA+0+0] // gra += incAL (lower)
_v_addc_co_u32 v[vgprGlobalReadAddrA+0+1], vcc, v[vgprGlobalReadAddrA+0+1], v[vgprGlobalReadIncsA+0+1], vcc // gra += incAL (upper)
_v_add_co_u32  v[vgprGlobalReadAddrA+2+0], vcc, v[vgprGlobalReadAddrA+2+0], v[vgprGlobalReadIncsA+0+0] // gra += incAL (lower)
_v_addc_co_u32 v[vgprGlobalReadAddrA+2+1], vcc, v[vgprGlobalReadAddrA+2+1], v[vgprGlobalReadIncsA+0+1], vcc // gra += incAL (upper)

/* global read inc B loopL */
_v_add_co_u32  v[vgprGlobalReadAddrB+0+0], vcc, v[vgprGlobalReadAddrB+0+0], v[vgprGlobalReadIncsB+0+0] // gra += incBL (lower)
_v_addc_co_u32 v[vgprGlobalReadAddrB+0+1], vcc, v[vgprGlobalReadAddrB+0+1], v[vgprGlobalReadIncsB+0+1], vcc // gra += incBL (upper)


/******************************************/
/* End setupNewTile, isPap=False             */
/******************************************/

ShadowInitStart_12: // 


	;; [unrolled: 1-line block ×3, first 2 shown]
/* initC: remove C-tile 0-0 from pool */

/* initC: remove AB-tile 0-24 from pool */
v_accvgpr_write acc0, 0x0                          // initC
v_accvgpr_write acc1, 0x0                          // initC
v_accvgpr_write acc2, 0x0                          // initC
v_accvgpr_write acc3, 0x0                          // initC
v_accvgpr_write acc4, 0x0                          // initC
v_accvgpr_write acc5, 0x0                          // initC
v_accvgpr_write acc6, 0x0                          // initC
v_accvgpr_write acc7, 0x0                          // initC
v_accvgpr_write acc8, 0x0                          // initC
v_accvgpr_write acc9, 0x0                          // initC
v_accvgpr_write acc10, 0x0                         // initC
v_accvgpr_write acc11, 0x0                         // initC
v_accvgpr_write acc12, 0x0                         // initC
v_accvgpr_write acc13, 0x0                         // initC
v_accvgpr_write acc14, 0x0                         // initC
v_accvgpr_write acc15, 0x0                         // initC
v_accvgpr_write acc16, 0x0                         // initC
v_accvgpr_write acc17, 0x0                         // initC
v_accvgpr_write acc18, 0x0                         // initC
v_accvgpr_write acc19, 0x0                         // initC
v_accvgpr_write acc20, 0x0                         // initC
v_accvgpr_write acc21, 0x0                         // initC
v_accvgpr_write acc22, 0x0                         // initC
v_accvgpr_write acc23, 0x0                         // initC
v_accvgpr_write acc24, 0x0                         // initC
v_accvgpr_write acc25, 0x0                         // initC
v_accvgpr_write acc26, 0x0                         // initC
v_accvgpr_write acc27, 0x0                         // initC
v_accvgpr_write acc28, 0x0                         // initC
v_accvgpr_write acc29, 0x0                         // initC
v_accvgpr_write acc30, 0x0                         // initC
v_accvgpr_write acc31, 0x0                         // initC
v_accvgpr_write acc32, 0x0                         // initC
v_accvgpr_write acc33, 0x0                         // initC
v_accvgpr_write acc34, 0x0                         // initC
v_accvgpr_write acc35, 0x0                         // initC
v_accvgpr_write acc36, 0x0                         // initC
v_accvgpr_write acc37, 0x0                         // initC
v_accvgpr_write acc38, 0x0                         // initC
v_accvgpr_write acc39, 0x0                         // initC
v_accvgpr_write acc40, 0x0                         // initC
v_accvgpr_write acc41, 0x0                         // initC
v_accvgpr_write acc42, 0x0                         // initC
v_accvgpr_write acc43, 0x0                         // initC
v_accvgpr_write acc44, 0x0                         // initC
v_accvgpr_write acc45, 0x0                         // initC
v_accvgpr_write acc46, 0x0                         // initC
v_accvgpr_write acc47, 0x0                         // initC
v_accvgpr_write acc48, 0x0                         // initC
v_accvgpr_write acc49, 0x0                         // initC
v_accvgpr_write acc50, 0x0                         // initC
v_accvgpr_write acc51, 0x0                         // initC
v_accvgpr_write acc52, 0x0                         // initC
v_accvgpr_write acc53, 0x0                         // initC
v_accvgpr_write acc54, 0x0                         // initC
v_accvgpr_write acc55, 0x0                         // initC
v_accvgpr_write acc56, 0x0                         // initC
v_accvgpr_write acc57, 0x0                         // initC
v_accvgpr_write acc58, 0x0                         // initC
v_accvgpr_write acc59, 0x0                         // initC
v_accvgpr_write acc60, 0x0                         // initC
v_accvgpr_write acc61, 0x0                         // initC
v_accvgpr_write acc62, 0x0                         // initC
v_accvgpr_write acc63, 0x0                         // initC

s_cmp_eq_u32 s[sgprLoopCounterL], 0                // at last iteration?

/* after InitC, skip to end of prefetch last iter if numIter==0 */
s_cbranch_scc0 label_NoBranch_13                   // Only branch on scc1
s_getpc_B64 s[20:21]                               // addr of next instr
s_add_i32 s22, PrefetchGlobalLastIterEnd_5, 0x4    // target branch offset
s_add_u32 s20, s20, s22                            // add target branch offset
s_addc_u32 s21, s21, 0                             // add high and carry
s_setpc_b64 s[20:21]                               // branch to PrefetchGlobalLastIterEnd_5
label_NoBranch_13:

s_waitcnt vmcnt(0)                                 // lgkmcnt=-1 vmcnt=0 8wait for global read


/* local write a */
_ds_store_b64 v[vgprLocalWriteAddrA], v[vgprG2LA+0:vgprG2LA+0+1] offset:0 // lwoA_0_0_0_0 = (0 + 0*LSCA)*(MT0I+PAD) + (0*LSPA) = 0
_ds_store_b64 v[vgprLocalWriteAddrA], v[vgprG2LA+2:vgprG2LA+2+1] offset:1040 // lwoA_0_1_0_0 = (1 + 0*LSCA)*(MT0I+PAD) + (0*LSPA) = 1040
_ds_store_b64 v[vgprLocalWriteAddrA], v[vgprG2LA+4:vgprG2LA+4+1] offset:512 // lwoA_0_0_1_0 = (0 + 0*LSCA)*(MT0I+PAD) + (1*LSPA) = 512
_ds_store_b64 v[vgprLocalWriteAddrA], v[vgprG2LA+6:vgprG2LA+6+1] offset:1552 // lwoA_0_1_1_0 = (1 + 0*LSCA)*(MT0I+PAD) + (1*LSPA) = 1552

/* local write b */
_ds_store_b128 v[vgprLocalWriteAddrB], v[vgprG2LB+0:vgprG2LB+0+3] offset:0 // lwoB_0_0_0_0 = (0*LSCB) + (0*LSPB)(*MT1J+PAD) = 0


/* local write swap a */


	;; [unrolled: 1-line block ×3, first 2 shown]
/* local write swap b */


	;; [unrolled: 1-line block ×4, first 2 shown]
s_cmp_eq_u32 s[sgprLoopCounterL] 0x1               // PGR=2 but only 1 loop
s_cbranch_scc1 label_0014                          // PGR=2 but only 1 loop


_global_load_b128 v[vgprG2LA+0:vgprG2LA+0+3], v[vgprGlobalReadAddrA+0:vgprGlobalReadAddrA+0+1], off, offset:0 // G -> Reg 0_0_0_0
_global_load_b128 v[vgprG2LA+4:vgprG2LA+4+3], v[vgprGlobalReadAddrA+2:vgprGlobalReadAddrA+2+1], off, offset:0 // G -> Reg 0_0_1_0


_global_load_b128 v[vgprG2LB+0:vgprG2LB+0+3], v[vgprGlobalReadAddrB+0:vgprGlobalReadAddrB+0+1], off, offset:0 // G -> Reg 0_0_0_0

label_0014:                                        // 

s_waitcnt lgkmcnt(0)                               // lgkmcnt=0 vmcnt=-10prefetch wait for local write

// Skip force waitcnt0
s_barrier //


/* local read prefetch a */

_ds_load_b64 v[vgprValuA_X0_I0+0:vgprValuA_X0_I0+0+1], v[vgprLocalReadAddrA] offset:0 // L -> Reg lro=0 swapByteOffset=0 ti=128 vIdx=0 rIdx=0 oIdx=0 buffer=0 iui=0
_ds_load_b64 v[vgprValuA_X0_I0+2:vgprValuA_X0_I0+2+1], v[vgprLocalReadAddrA] offset:8 // L -> Reg lro=0 swapByteOffset=0 ti=128 vIdx=0 rIdx=0 oIdx=0 buffer=0 iui=0


/* local read prefetch b */

_ds_load_b64 v[vgprValuB_X0_I0+0:vgprValuB_X0_I0+0+1], v[vgprLocalReadAddrB] offset:0 // L -> Reg lro=0 swapByteOffset=0 ti=16 vIdx=0 rIdx=0 oIdx=0 buffer=0 iui=0
_ds_load_b64 v[vgprValuB_X0_I0+2:vgprValuB_X0_I0+2+1], v[vgprLocalReadAddrB] offset:128 // L -> Reg lro=0 swapByteOffset=0 ti=16 vIdx=1 rIdx=0 oIdx=0 buffer=0 iui=0
	;; [unrolled: 1-line block ×4, first 2 shown]


/* local read inc a */

/* N/A, lro->520 */
/* self.localReadDoCntA 1 self.localReadDoCntB 1 */


/* local read inc b */

/* N/A, lro->256 */
/* self.localReadDoCntA 1 self.localReadDoCntB 1 */


	;; [unrolled: 1-line block ×3, first 2 shown]
/******************************************/
/* Unrolled Loop(s) - Begin               */
/******************************************/

openLoopL_15:
s_cmp_eq_u32 s[sgprLoopCounterL], 0x1              // LoopCounterL < EndCounter
s_cbranch_scc1 label_0016                          // PGR=2 but only 1 loop, toPGR1
s_cmp_le_u32 s[sgprLoopCounterL], 0x2              // LoopCounterL < EndCounter
s_cbranch_scc1 LoopEndL_2                          // do not enter LoopL
LoopBeginL_1:


/******************************************/
/* Unrolled Loop 1/1 - Begin              */
/******************************************/

label_0017: // LoopCopy1 


/* Begin Each Unroll: Check VGPR.checkin for INT8 LW */


	;; [unrolled: 1-line block ×3, first 2 shown]
/* iter 0 (reset local read pointers iteration)  (swap local read pointers iteration)  */

/*  grEndMfmaIndex:2, lwStartMfmaIndex:11, lwEndMfmaIndex:56  */
/*  numMfmaForLR:5, barrierMfmaIndex:58, LocalWritePerMfma:0.045 */
/*  mfmaIndex:0  */
s_waitcnt lgkmcnt(0)                               // lgkmcnt=0 vmcnt=-1wait for prior local read local write old=0, new=0 newLW=0 newLR=0
v_add_f32 v51, -v[vgprValuA_X0_I0+0+0+0+1], 0      // Ai=-Ai
v_mfma_f32_16x16x4f32 a[0+0:3+0], v[vgprValuB_X0_I0+0+0+0], v[vgprValuA_X0_I0+0+0+0], a[0:3]
 // Cr += Ar*Br
/*  mfmaIndex:1  */
_ds_load_b64 v[vgprValuA_X1_I0+0:vgprValuA_X1_I0+0+1], v[vgprLocalReadAddrA] offset:4160 // L -> Reg lro=520 swapByteOffset=0 ti=128 vIdx=0 rIdx=0 oIdx=0 buffer=1 iui=0
_ds_load_b64 v[vgprValuB_X1_I0+0:vgprValuB_X1_I0+0+1], v[vgprLocalReadAddrB] offset:2048 // L -> Reg lro=256 swapByteOffset=0 ti=16 vIdx=0 rIdx=0 oIdx=0 buffer=1 iui=0

/* global read inc A loopL */
_v_add_co_u32  v[vgprGlobalReadAddrA+0+0], vcc, v[vgprGlobalReadAddrA+0+0], v[vgprGlobalReadIncsA+0+0] // gra += incAL (lower)
_v_addc_co_u32 v[vgprGlobalReadAddrA+0+1], vcc, v[vgprGlobalReadAddrA+0+1], v[vgprGlobalReadIncsA+0+1], vcc // gra += incAL (upper)
_v_add_co_u32  v[vgprGlobalReadAddrA+2+0], vcc, v[vgprGlobalReadAddrA+2+0], v[vgprGlobalReadIncsA+0+0] // gra += incAL (lower)
v_mfma_f32_16x16x4f32 a[32+0:35+0], v[vgprValuB_X0_I0+0+0+0], v51, a[32:35]
 // Ci += -Ai*Br
/*  mfmaIndex:2  */
_ds_load_b64 v[vgprValuA_X1_I0+2:vgprValuA_X1_I0+2+1], v[vgprLocalReadAddrA] offset:4168 // L -> Reg lro=520 swapByteOffset=0 ti=128 vIdx=0 rIdx=0 oIdx=0 buffer=1 iui=0
_ds_load_b64 v[vgprValuB_X1_I0+2:vgprValuB_X1_I0+2+1], v[vgprLocalReadAddrB] offset:2176 // L -> Reg lro=256 swapByteOffset=0 ti=16 vIdx=1 rIdx=0 oIdx=0 buffer=1 iui=0
_v_addc_co_u32 v[vgprGlobalReadAddrA+2+1], vcc, v[vgprGlobalReadAddrA+2+1], v[vgprGlobalReadIncsA+0+1], vcc // gra += incAL (upper)

/* global read inc B loopL */
_v_add_co_u32  v[vgprGlobalReadAddrB+0+0], vcc, v[vgprGlobalReadAddrB+0+0], v[vgprGlobalReadIncsB+0+0] // gra += incBL (lower)
_v_addc_co_u32 v[vgprGlobalReadAddrB+0+1], vcc, v[vgprGlobalReadAddrB+0+1], v[vgprGlobalReadIncsB+0+1], vcc // gra += incBL (upper)
v_mfma_f32_16x16x4f32 a[0+0:3+0], v[vgprValuB_X0_I0+0+0+0+1], v[vgprValuA_X0_I0+0+0+0+1], a[0:3]
 // Cr += Ai*Bi
/*  mfmaIndex:3  */
_ds_load_b64 v[vgprValuB_X1_I0+4:vgprValuB_X1_I0+4+1], v[vgprLocalReadAddrB] offset:2304 // L -> Reg lro=256 swapByteOffset=0 ti=16 vIdx=2 rIdx=0 oIdx=0 buffer=1 iui=0
_ds_load_b64 v[vgprValuB_X1_I0+6:vgprValuB_X1_I0+6+1], v[vgprLocalReadAddrB] offset:2432 // L -> Reg lro=256 swapByteOffset=0 ti=16 vIdx=3 rIdx=0 oIdx=0 buffer=1 iui=0
/* localReadsVacancy: latencyLeft 1 */
v_mfma_f32_16x16x4f32 a[32+0:35+0], v[vgprValuB_X0_I0+0+0+0+1], v[vgprValuA_X0_I0+0+0+0], a[32:35]
 // Ci += Ar*Bi
/*  mfmaIndex:4  */
/* localReadsVacancy: latencyLeft 5 */
v_mfma_f32_16x16x4f32 a[8+0:11+0], v[vgprValuB_X0_I0+2+0+0], v[vgprValuA_X0_I0+0+0+0], a[8:11]
 // Cr += Ar*Br
/*  mfmaIndex:5  */
/* localReadsVacancy: latencyLeft 5 */
v_mfma_f32_16x16x4f32 a[40+0:43+0], v[vgprValuB_X0_I0+2+0+0], v51, a[40:43]
 // Ci += -Ai*Br
/*  mfmaIndex:6  */
/* localReadsVacancy: latencyLeft 5 */
v_mfma_f32_16x16x4f32 a[8+0:11+0], v[vgprValuB_X0_I0+2+0+0+1], v[vgprValuA_X0_I0+0+0+0+1], a[8:11]
 // Cr += Ai*Bi
/*  mfmaIndex:7  */
/* localReadsVacancy: latencyLeft 5 */
v_mfma_f32_16x16x4f32 a[40+0:43+0], v[vgprValuB_X0_I0+2+0+0+1], v[vgprValuA_X0_I0+0+0+0], a[40:43]
 // Ci += Ar*Bi
/*  mfmaIndex:8  */
/* localReadsVacancy: latencyLeft 5 */
v_mfma_f32_16x16x4f32 a[16+0:19+0], v[vgprValuB_X0_I0+4+0+0], v[vgprValuA_X0_I0+0+0+0], a[16:19]
 // Cr += Ar*Br
/*  mfmaIndex:9  */
/* localReadsVacancy: latencyLeft 5 */
v_mfma_f32_16x16x4f32 a[48+0:51+0], v[vgprValuB_X0_I0+4+0+0], v51, a[48:51]
 // Ci += -Ai*Br
/*  mfmaIndex:10  */
/* localReadsVacancy: latencyLeft 5 */
/* 1 LDS buffer: read-sync-write */
s_waitcnt lgkmcnt(0)                               // 
s_barrier                                          // 
v_mfma_f32_16x16x4f32 a[16+0:19+0], v[vgprValuB_X0_I0+4+0+0+1], v[vgprValuA_X0_I0+0+0+0+1], a[16:19]
 // Cr += Ai*Bi
/*  mfmaIndex:11  */
/* sched write - iter 0 writesPerItem=2 */
s_waitcnt vmcnt(0)                                 // lgkmcnt=-1 vmcnt=0wait for global read before writing to local
_ds_store_b64 v[vgprLocalWriteAddrA], v[vgprG2LA+0:vgprG2LA+0+1] offset:0 // lwoA_0_0_0_0 = (0 + 0*LSCA)*(MT0I+PAD) + (0*LSPA) = 0
_ds_store_b64 v[vgprLocalWriteAddrA], v[vgprG2LA+2:vgprG2LA+2+1] offset:1040 // lwoA_0_1_0_0 = (1 + 0*LSCA)*(MT0I+PAD) + (0*LSPA) = 1040
v_mfma_f32_16x16x4f32 a[48+0:51+0], v[vgprValuB_X0_I0+4+0+0+1], v[vgprValuA_X0_I0+0+0+0], a[48:51]
 // Ci += Ar*Bi
/*  mfmaIndex:12  */
_global_load_b128 v[vgprG2LA+0:vgprG2LA+0+3], v[vgprGlobalReadAddrA+0:vgprGlobalReadAddrA+0+1], off, offset:0 // G -> Reg 0_0_0_0
v_mfma_f32_16x16x4f32 a[24+0:27+0], v[vgprValuB_X0_I0+6+0+0], v[vgprValuA_X0_I0+0+0+0], a[24:27]
 // Cr += Ar*Br
/*  mfmaIndex:13  */
v_mfma_f32_16x16x4f32 a[56+0:59+0], v[vgprValuB_X0_I0+6+0+0], v51, a[56:59]
 // Ci += -Ai*Br
/*  mfmaIndex:14  */
v_mfma_f32_16x16x4f32 a[24+0:27+0], v[vgprValuB_X0_I0+6+0+0+1], v[vgprValuA_X0_I0+0+0+0+1], a[24:27]
 // Cr += Ai*Bi
/*  mfmaIndex:15  */
v_mfma_f32_16x16x4f32 a[56+0:59+0], v[vgprValuB_X0_I0+6+0+0+1], v[vgprValuA_X0_I0+0+0+0], a[56:59]
 // Ci += Ar*Bi
/*  mfmaIndex:16  */
v_add_f32 v51, -v[vgprValuA_X0_I0+2+0+0+1], 0      // Ai=-Ai
v_mfma_f32_16x16x4f32 a[4+0:7+0], v[vgprValuB_X0_I0+0+0+0], v[vgprValuA_X0_I0+2+0+0], a[4:7]
 // Cr += Ar*Br
/*  mfmaIndex:17  */
v_mfma_f32_16x16x4f32 a[36+0:39+0], v[vgprValuB_X0_I0+0+0+0], v51, a[36:39]
 // Ci += -Ai*Br
/*  mfmaIndex:18  */
v_mfma_f32_16x16x4f32 a[4+0:7+0], v[vgprValuB_X0_I0+0+0+0+1], v[vgprValuA_X0_I0+2+0+0+1], a[4:7]
 // Cr += Ai*Bi
/*  mfmaIndex:19  */
v_mfma_f32_16x16x4f32 a[36+0:39+0], v[vgprValuB_X0_I0+0+0+0+1], v[vgprValuA_X0_I0+2+0+0], a[36:39]
 // Ci += Ar*Bi
/*  mfmaIndex:20  */
v_mfma_f32_16x16x4f32 a[12+0:15+0], v[vgprValuB_X0_I0+2+0+0], v[vgprValuA_X0_I0+2+0+0], a[12:15]
 // Cr += Ar*Br
/*  mfmaIndex:21  */
v_mfma_f32_16x16x4f32 a[44+0:47+0], v[vgprValuB_X0_I0+2+0+0], v51, a[44:47]
 // Ci += -Ai*Br
/*  mfmaIndex:22  */
v_mfma_f32_16x16x4f32 a[12+0:15+0], v[vgprValuB_X0_I0+2+0+0+1], v[vgprValuA_X0_I0+2+0+0+1], a[12:15]
 // Cr += Ai*Bi
/*  mfmaIndex:23  */
v_mfma_f32_16x16x4f32 a[44+0:47+0], v[vgprValuB_X0_I0+2+0+0+1], v[vgprValuA_X0_I0+2+0+0], a[44:47]
 // Ci += Ar*Bi
/*  mfmaIndex:24  */
	;; [unrolled: 12-line block ×3, first 2 shown]
v_mfma_f32_16x16x4f32 a[28+0:31+0], v[vgprValuB_X0_I0+6+0+0], v[vgprValuA_X0_I0+2+0+0], a[28:31]
 // Cr += Ar*Br
/*  mfmaIndex:29  */
v_mfma_f32_16x16x4f32 a[60+0:63+0], v[vgprValuB_X0_I0+6+0+0], v51, a[60:63]
 // Ci += -Ai*Br
/*  mfmaIndex:30  */
v_mfma_f32_16x16x4f32 a[28+0:31+0], v[vgprValuB_X0_I0+6+0+0+1], v[vgprValuA_X0_I0+2+0+0+1], a[28:31]
 // Cr += Ai*Bi
/*  mfmaIndex:31  */

/* local read swap offsets a */

/* local read swap offsets b */

/* local read init pointers a */

/* localReadInitPointers */

/* local read init pointers b */

/* localReadInitPointers */
v_mfma_f32_16x16x4f32 a[60+0:63+0], v[vgprValuB_X0_I0+6+0+0+1], v[vgprValuA_X0_I0+2+0+0], a[60:63]
 // Ci += Ar*Bi
/* numPrefetchIter=0 */
/* dataAtIterA=-1 numReadsIterA=1 skipReadsIterA=1 readsPerIterA=2 */
/* dataAtIterB=-1 numReadsIterB=1 skipReadsIterB=1 readsPerIterB=4 */


/* iter 1 (swap and reset local write pointers iteration)  */

/*  grEndMfmaIndex:2, lwStartMfmaIndex:11, lwEndMfmaIndex:56  */
/*  numMfmaForLR:5, barrierMfmaIndex:58, LocalWritePerMfma:0.045 */
/*  mfmaIndex:32  */
v_add_f32 v51, -v[vgprValuA_X1_I0+0+0+0+1], 0      // Ai=-Ai
v_mfma_f32_16x16x4f32 a[0+0:3+0], v[vgprValuB_X1_I0+0+0+0], v[vgprValuA_X1_I0+0+0+0], a[0:3]
 // Cr += Ar*Br
/*  mfmaIndex:33  */
/* sched write - iter 1 writesPerItem=2 */
s_waitcnt vmcnt(0)                                 // lgkmcnt=-1 vmcnt=0wait for global read before writing to local
_ds_store_b64 v[vgprLocalWriteAddrA], v[vgprG2LA+4:vgprG2LA+4+1] offset:512 // lwoA_0_0_1_0 = (0 + 0*LSCA)*(MT0I+PAD) + (1*LSPA) = 512
_ds_store_b64 v[vgprLocalWriteAddrA], v[vgprG2LA+6:vgprG2LA+6+1] offset:1552 // lwoA_0_1_1_0 = (1 + 0*LSCA)*(MT0I+PAD) + (1*LSPA) = 1552
v_mfma_f32_16x16x4f32 a[32+0:35+0], v[vgprValuB_X1_I0+0+0+0], v51, a[32:35]
 // Ci += -Ai*Br
/*  mfmaIndex:34  */
_global_load_b128 v[vgprG2LA+4:vgprG2LA+4+3], v[vgprGlobalReadAddrA+2:vgprGlobalReadAddrA+2+1], off, offset:0 // G -> Reg 0_0_1_0
v_mfma_f32_16x16x4f32 a[0+0:3+0], v[vgprValuB_X1_I0+0+0+0+1], v[vgprValuA_X1_I0+0+0+0+1], a[0:3]
 // Cr += Ai*Bi
/*  mfmaIndex:35  */
v_mfma_f32_16x16x4f32 a[32+0:35+0], v[vgprValuB_X1_I0+0+0+0+1], v[vgprValuA_X1_I0+0+0+0], a[32:35]
 // Ci += Ar*Bi
/*  mfmaIndex:36  */
v_mfma_f32_16x16x4f32 a[8+0:11+0], v[vgprValuB_X1_I0+2+0+0], v[vgprValuA_X1_I0+0+0+0], a[8:11]
 // Cr += Ar*Br
/*  mfmaIndex:37  */
v_mfma_f32_16x16x4f32 a[40+0:43+0], v[vgprValuB_X1_I0+2+0+0], v51, a[40:43]
 // Ci += -Ai*Br
/*  mfmaIndex:38  */
v_mfma_f32_16x16x4f32 a[8+0:11+0], v[vgprValuB_X1_I0+2+0+0+1], v[vgprValuA_X1_I0+0+0+0+1], a[8:11]
 // Cr += Ai*Bi
/*  mfmaIndex:39  */
v_mfma_f32_16x16x4f32 a[40+0:43+0], v[vgprValuB_X1_I0+2+0+0+1], v[vgprValuA_X1_I0+0+0+0], a[40:43]
 // Ci += Ar*Bi
/*  mfmaIndex:40  */
v_mfma_f32_16x16x4f32 a[16+0:19+0], v[vgprValuB_X1_I0+4+0+0], v[vgprValuA_X1_I0+0+0+0], a[16:19]
 // Cr += Ar*Br
/*  mfmaIndex:41  */
v_mfma_f32_16x16x4f32 a[48+0:51+0], v[vgprValuB_X1_I0+4+0+0], v51, a[48:51]
 // Ci += -Ai*Br
/*  mfmaIndex:42  */
	;; [unrolled: 12-line block ×3, first 2 shown]
v_mfma_f32_16x16x4f32 a[24+0:27+0], v[vgprValuB_X1_I0+6+0+0+1], v[vgprValuA_X1_I0+0+0+0+1], a[24:27]
 // Cr += Ai*Bi
/*  mfmaIndex:47  */
v_mfma_f32_16x16x4f32 a[56+0:59+0], v[vgprValuB_X1_I0+6+0+0+1], v[vgprValuA_X1_I0+0+0+0], a[56:59]
 // Ci += Ar*Bi
/*  mfmaIndex:48  */
v_add_f32 v51, -v[vgprValuA_X1_I0+2+0+0+1], 0      // Ai=-Ai
v_mfma_f32_16x16x4f32 a[4+0:7+0], v[vgprValuB_X1_I0+0+0+0], v[vgprValuA_X1_I0+2+0+0], a[4:7]
 // Cr += Ar*Br
/*  mfmaIndex:49  */
v_mfma_f32_16x16x4f32 a[36+0:39+0], v[vgprValuB_X1_I0+0+0+0], v51, a[36:39]
 // Ci += -Ai*Br
/*  mfmaIndex:50  */
v_mfma_f32_16x16x4f32 a[4+0:7+0], v[vgprValuB_X1_I0+0+0+0+1], v[vgprValuA_X1_I0+2+0+0+1], a[4:7]
 // Cr += Ai*Bi
/*  mfmaIndex:51  */
v_mfma_f32_16x16x4f32 a[36+0:39+0], v[vgprValuB_X1_I0+0+0+0+1], v[vgprValuA_X1_I0+2+0+0], a[36:39]
 // Ci += Ar*Bi
/*  mfmaIndex:52  */
v_mfma_f32_16x16x4f32 a[12+0:15+0], v[vgprValuB_X1_I0+2+0+0], v[vgprValuA_X1_I0+2+0+0], a[12:15]
 // Cr += Ar*Br
/*  mfmaIndex:53  */
v_mfma_f32_16x16x4f32 a[44+0:47+0], v[vgprValuB_X1_I0+2+0+0], v51, a[44:47]
 // Ci += -Ai*Br
/*  mfmaIndex:54  */
v_mfma_f32_16x16x4f32 a[12+0:15+0], v[vgprValuB_X1_I0+2+0+0+1], v[vgprValuA_X1_I0+2+0+0+1], a[12:15]
 // Cr += Ai*Bi
/*  mfmaIndex:55  */
/* sched write - iter 1 writesPerItem=1 */
s_waitcnt vmcnt(0)                                 // lgkmcnt=-1 vmcnt=0wait for global read before writing to local
_ds_store_b128 v[vgprLocalWriteAddrB], v[vgprG2LB+0:vgprG2LB+0+3] offset:0 // lwoB_0_0_0_0 = (0*LSCB) + (0*LSPB)(*MT1J+PAD) = 0
v_mfma_f32_16x16x4f32 a[44+0:47+0], v[vgprValuB_X1_I0+2+0+0+1], v[vgprValuA_X1_I0+2+0+0], a[44:47]
 // Ci += Ar*Bi
/*  mfmaIndex:56  */
_global_load_b128 v[vgprG2LB+0:vgprG2LB+0+3], v[vgprGlobalReadAddrB+0:vgprGlobalReadAddrB+0+1], off, offset:0 // G -> Reg 0_0_0_0

/* local write swap offsets a */

/* local write swap offsets b */
v_mfma_f32_16x16x4f32 a[20+0:23+0], v[vgprValuB_X1_I0+4+0+0], v[vgprValuA_X1_I0+2+0+0], a[20:23]
 // Cr += Ar*Br
/*  mfmaIndex:57  */
v_mfma_f32_16x16x4f32 a[52+0:55+0], v[vgprValuB_X1_I0+4+0+0], v51, a[52:55]
 // Ci += -Ai*Br
/*  mfmaIndex:58  */
s_waitcnt lgkmcnt(0)                               // lgkmcnt=0 vmcnt=-13wait for local write
// Skip force waitcnt0
s_barrier //
v_mfma_f32_16x16x4f32 a[20+0:23+0], v[vgprValuB_X1_I0+4+0+0+1], v[vgprValuA_X1_I0+2+0+0+1], a[20:23]
 // Cr += Ai*Bi
/*  mfmaIndex:59  */
_ds_load_b64 v[vgprValuA_X0_I0+0:vgprValuA_X0_I0+0+1], v[vgprLocalReadAddrA] offset:0 // L -> Reg lro=0 swapByteOffset=0 ti=128 vIdx=0 rIdx=0 oIdx=0 buffer=0 iui=0
_ds_load_b64 v[vgprValuB_X0_I0+0:vgprValuB_X0_I0+0+1], v[vgprLocalReadAddrB] offset:0 // L -> Reg lro=0 swapByteOffset=0 ti=16 vIdx=0 rIdx=0 oIdx=0 buffer=0 iui=0
v_mfma_f32_16x16x4f32 a[52+0:55+0], v[vgprValuB_X1_I0+4+0+0+1], v[vgprValuA_X1_I0+2+0+0], a[52:55]
 // Ci += Ar*Bi
/*  mfmaIndex:60  */
_ds_load_b64 v[vgprValuA_X0_I0+2:vgprValuA_X0_I0+2+1], v[vgprLocalReadAddrA] offset:8 // L -> Reg lro=0 swapByteOffset=0 ti=128 vIdx=0 rIdx=0 oIdx=0 buffer=0 iui=0
_ds_load_b64 v[vgprValuB_X0_I0+2:vgprValuB_X0_I0+2+1], v[vgprLocalReadAddrB] offset:128 // L -> Reg lro=0 swapByteOffset=0 ti=16 vIdx=1 rIdx=0 oIdx=0 buffer=0 iui=0
v_mfma_f32_16x16x4f32 a[28+0:31+0], v[vgprValuB_X1_I0+6+0+0], v[vgprValuA_X1_I0+2+0+0], a[28:31]
 // Cr += Ar*Br
/*  mfmaIndex:61  */
_ds_load_b64 v[vgprValuB_X0_I0+4:vgprValuB_X0_I0+4+1], v[vgprLocalReadAddrB] offset:256 // L -> Reg lro=0 swapByteOffset=0 ti=16 vIdx=2 rIdx=0 oIdx=0 buffer=0 iui=0
_ds_load_b64 v[vgprValuB_X0_I0+6:vgprValuB_X0_I0+6+1], v[vgprLocalReadAddrB] offset:384 // L -> Reg lro=0 swapByteOffset=0 ti=16 vIdx=3 rIdx=0 oIdx=0 buffer=0 iui=0
v_mfma_f32_16x16x4f32 a[60+0:63+0], v[vgprValuB_X1_I0+6+0+0], v51, a[60:63]
 // Ci += -Ai*Br
/*  mfmaIndex:62  */
v_mfma_f32_16x16x4f32 a[28+0:31+0], v[vgprValuB_X1_I0+6+0+0+1], v[vgprValuA_X1_I0+2+0+0+1], a[28:31]
 // Cr += Ai*Bi
/*  mfmaIndex:63  */
v_mfma_f32_16x16x4f32 a[60+0:63+0], v[vgprValuB_X1_I0+6+0+0+1], v[vgprValuA_X1_I0+2+0+0], a[60:63]
 // Ci += Ar*Bi


/******************************************/
/* Unrolled Loop - End                    */
/******************************************/


/* closeLoop loopL finalLoop=1 tailLoop=0 */
s_sub_u32 s[sgprLoopCounterL], s[sgprLoopCounterL], 1 // dec counterL
s_cmp_eq_i32 s[sgprLoopCounterL], 0x2              // counterL==2
s_cbranch_scc0 LoopBeginL_1                        // restart LoopL
LoopEndL_2:


/* Before NLL: Check VGPR.checkin for INT8 LW */


/******************************************/
/* Ord. NoGlobalLoadLoop - Begin                                      */
/******************************************/


	;; [unrolled: 1-line block ×3, first 2 shown]
/* iter 0 (reset local read pointers iteration)  (swap local read pointers iteration)  */

/*  grEndMfmaIndex:2, lwStartMfmaIndex:11, lwEndMfmaIndex:56  */
/*  numMfmaForLR:5, barrierMfmaIndex:58, LocalWritePerMfma:0.045 */
/*  mfmaIndex:0  */
s_waitcnt lgkmcnt(0)                               // lgkmcnt=0 vmcnt=-1wait for prior local read local write old=0, new=0 newLW=0 newLR=0
v_add_f32 v51, -v[vgprValuA_X0_I0+0+0+0+1], 0      // Ai=-Ai
v_mfma_f32_16x16x4f32 a[0+0:3+0], v[vgprValuB_X0_I0+0+0+0], v[vgprValuA_X0_I0+0+0+0], a[0:3]
 // Cr += Ar*Br
/*  mfmaIndex:1  */
_ds_load_b64 v[vgprValuA_X1_I0+0:vgprValuA_X1_I0+0+1], v[vgprLocalReadAddrA] offset:4160 // L -> Reg lro=520 swapByteOffset=0 ti=128 vIdx=0 rIdx=0 oIdx=0 buffer=1 iui=0
_ds_load_b64 v[vgprValuB_X1_I0+0:vgprValuB_X1_I0+0+1], v[vgprLocalReadAddrB] offset:2048 // L -> Reg lro=256 swapByteOffset=0 ti=16 vIdx=0 rIdx=0 oIdx=0 buffer=1 iui=0

/* global read inc A loopL */
_v_add_co_u32  v[vgprGlobalReadAddrA+0+0], vcc, v[vgprGlobalReadAddrA+0+0], v[vgprGlobalReadIncsA+0+0] // gra += incAL (lower)
_v_addc_co_u32 v[vgprGlobalReadAddrA+0+1], vcc, v[vgprGlobalReadAddrA+0+1], v[vgprGlobalReadIncsA+0+1], vcc // gra += incAL (upper)
_v_add_co_u32  v[vgprGlobalReadAddrA+2+0], vcc, v[vgprGlobalReadAddrA+2+0], v[vgprGlobalReadIncsA+0+0] // gra += incAL (lower)
v_mfma_f32_16x16x4f32 a[32+0:35+0], v[vgprValuB_X0_I0+0+0+0], v51, a[32:35]
 // Ci += -Ai*Br
/*  mfmaIndex:2  */
_ds_load_b64 v[vgprValuA_X1_I0+2:vgprValuA_X1_I0+2+1], v[vgprLocalReadAddrA] offset:4168 // L -> Reg lro=520 swapByteOffset=0 ti=128 vIdx=0 rIdx=0 oIdx=0 buffer=1 iui=0
_ds_load_b64 v[vgprValuB_X1_I0+2:vgprValuB_X1_I0+2+1], v[vgprLocalReadAddrB] offset:2176 // L -> Reg lro=256 swapByteOffset=0 ti=16 vIdx=1 rIdx=0 oIdx=0 buffer=1 iui=0
_v_addc_co_u32 v[vgprGlobalReadAddrA+2+1], vcc, v[vgprGlobalReadAddrA+2+1], v[vgprGlobalReadIncsA+0+1], vcc // gra += incAL (upper)

/* global read inc B loopL */
_v_add_co_u32  v[vgprGlobalReadAddrB+0+0], vcc, v[vgprGlobalReadAddrB+0+0], v[vgprGlobalReadIncsB+0+0] // gra += incBL (lower)
_v_addc_co_u32 v[vgprGlobalReadAddrB+0+1], vcc, v[vgprGlobalReadAddrB+0+1], v[vgprGlobalReadIncsB+0+1], vcc // gra += incBL (upper)
v_mfma_f32_16x16x4f32 a[0+0:3+0], v[vgprValuB_X0_I0+0+0+0+1], v[vgprValuA_X0_I0+0+0+0+1], a[0:3]
 // Cr += Ai*Bi
/*  mfmaIndex:3  */
_ds_load_b64 v[vgprValuB_X1_I0+4:vgprValuB_X1_I0+4+1], v[vgprLocalReadAddrB] offset:2304 // L -> Reg lro=256 swapByteOffset=0 ti=16 vIdx=2 rIdx=0 oIdx=0 buffer=1 iui=0
_ds_load_b64 v[vgprValuB_X1_I0+6:vgprValuB_X1_I0+6+1], v[vgprLocalReadAddrB] offset:2432 // L -> Reg lro=256 swapByteOffset=0 ti=16 vIdx=3 rIdx=0 oIdx=0 buffer=1 iui=0
/* localReadsVacancy: latencyLeft 1 */
v_mfma_f32_16x16x4f32 a[32+0:35+0], v[vgprValuB_X0_I0+0+0+0+1], v[vgprValuA_X0_I0+0+0+0], a[32:35]
 // Ci += Ar*Bi
/*  mfmaIndex:4  */
/* localReadsVacancy: latencyLeft 5 */
v_mfma_f32_16x16x4f32 a[8+0:11+0], v[vgprValuB_X0_I0+2+0+0], v[vgprValuA_X0_I0+0+0+0], a[8:11]
 // Cr += Ar*Br
/*  mfmaIndex:5  */
/* localReadsVacancy: latencyLeft 5 */
v_mfma_f32_16x16x4f32 a[40+0:43+0], v[vgprValuB_X0_I0+2+0+0], v51, a[40:43]
 // Ci += -Ai*Br
/*  mfmaIndex:6  */
/* localReadsVacancy: latencyLeft 5 */
v_mfma_f32_16x16x4f32 a[8+0:11+0], v[vgprValuB_X0_I0+2+0+0+1], v[vgprValuA_X0_I0+0+0+0+1], a[8:11]
 // Cr += Ai*Bi
/*  mfmaIndex:7  */
/* localReadsVacancy: latencyLeft 5 */
v_mfma_f32_16x16x4f32 a[40+0:43+0], v[vgprValuB_X0_I0+2+0+0+1], v[vgprValuA_X0_I0+0+0+0], a[40:43]
 // Ci += Ar*Bi
/*  mfmaIndex:8  */
/* localReadsVacancy: latencyLeft 5 */
v_mfma_f32_16x16x4f32 a[16+0:19+0], v[vgprValuB_X0_I0+4+0+0], v[vgprValuA_X0_I0+0+0+0], a[16:19]
 // Cr += Ar*Br
/*  mfmaIndex:9  */
/* localReadsVacancy: latencyLeft 5 */
v_mfma_f32_16x16x4f32 a[48+0:51+0], v[vgprValuB_X0_I0+4+0+0], v51, a[48:51]
 // Ci += -Ai*Br
/*  mfmaIndex:10  */
/* localReadsVacancy: latencyLeft 5 */
/* 1 LDS buffer: read-sync-write */
s_waitcnt lgkmcnt(0)                               // 
s_barrier                                          // 
v_mfma_f32_16x16x4f32 a[16+0:19+0], v[vgprValuB_X0_I0+4+0+0+1], v[vgprValuA_X0_I0+0+0+0+1], a[16:19]
 // Cr += Ai*Bi
/*  mfmaIndex:11  */
/* sched write - iter 0 writesPerItem=2 */
s_waitcnt vmcnt(0)                                 // lgkmcnt=-1 vmcnt=0wait for global read before writing to local
_ds_store_b64 v[vgprLocalWriteAddrA], v[vgprG2LA+0:vgprG2LA+0+1] offset:0 // lwoA_0_0_0_0 = (0 + 0*LSCA)*(MT0I+PAD) + (0*LSPA) = 0
_ds_store_b64 v[vgprLocalWriteAddrA], v[vgprG2LA+2:vgprG2LA+2+1] offset:1040 // lwoA_0_1_0_0 = (1 + 0*LSCA)*(MT0I+PAD) + (0*LSPA) = 1040
v_mfma_f32_16x16x4f32 a[48+0:51+0], v[vgprValuB_X0_I0+4+0+0+1], v[vgprValuA_X0_I0+0+0+0], a[48:51]
 // Ci += Ar*Bi
/*  mfmaIndex:12  */
v_mfma_f32_16x16x4f32 a[24+0:27+0], v[vgprValuB_X0_I0+6+0+0], v[vgprValuA_X0_I0+0+0+0], a[24:27]
 // Cr += Ar*Br
/*  mfmaIndex:13  */
v_mfma_f32_16x16x4f32 a[56+0:59+0], v[vgprValuB_X0_I0+6+0+0], v51, a[56:59]
 // Ci += -Ai*Br
/*  mfmaIndex:14  */
v_mfma_f32_16x16x4f32 a[24+0:27+0], v[vgprValuB_X0_I0+6+0+0+1], v[vgprValuA_X0_I0+0+0+0+1], a[24:27]
 // Cr += Ai*Bi
/*  mfmaIndex:15  */
v_mfma_f32_16x16x4f32 a[56+0:59+0], v[vgprValuB_X0_I0+6+0+0+1], v[vgprValuA_X0_I0+0+0+0], a[56:59]
 // Ci += Ar*Bi
/*  mfmaIndex:16  */
v_add_f32 v51, -v[vgprValuA_X0_I0+2+0+0+1], 0      // Ai=-Ai
v_mfma_f32_16x16x4f32 a[4+0:7+0], v[vgprValuB_X0_I0+0+0+0], v[vgprValuA_X0_I0+2+0+0], a[4:7]
 // Cr += Ar*Br
/*  mfmaIndex:17  */
v_mfma_f32_16x16x4f32 a[36+0:39+0], v[vgprValuB_X0_I0+0+0+0], v51, a[36:39]
 // Ci += -Ai*Br
/*  mfmaIndex:18  */
v_mfma_f32_16x16x4f32 a[4+0:7+0], v[vgprValuB_X0_I0+0+0+0+1], v[vgprValuA_X0_I0+2+0+0+1], a[4:7]
 // Cr += Ai*Bi
/*  mfmaIndex:19  */
v_mfma_f32_16x16x4f32 a[36+0:39+0], v[vgprValuB_X0_I0+0+0+0+1], v[vgprValuA_X0_I0+2+0+0], a[36:39]
 // Ci += Ar*Bi
/*  mfmaIndex:20  */
v_mfma_f32_16x16x4f32 a[12+0:15+0], v[vgprValuB_X0_I0+2+0+0], v[vgprValuA_X0_I0+2+0+0], a[12:15]
 // Cr += Ar*Br
/*  mfmaIndex:21  */
v_mfma_f32_16x16x4f32 a[44+0:47+0], v[vgprValuB_X0_I0+2+0+0], v51, a[44:47]
 // Ci += -Ai*Br
/*  mfmaIndex:22  */
v_mfma_f32_16x16x4f32 a[12+0:15+0], v[vgprValuB_X0_I0+2+0+0+1], v[vgprValuA_X0_I0+2+0+0+1], a[12:15]
 // Cr += Ai*Bi
/*  mfmaIndex:23  */
v_mfma_f32_16x16x4f32 a[44+0:47+0], v[vgprValuB_X0_I0+2+0+0+1], v[vgprValuA_X0_I0+2+0+0], a[44:47]
 // Ci += Ar*Bi
/*  mfmaIndex:24  */
	;; [unrolled: 12-line block ×3, first 2 shown]
v_mfma_f32_16x16x4f32 a[28+0:31+0], v[vgprValuB_X0_I0+6+0+0], v[vgprValuA_X0_I0+2+0+0], a[28:31]
 // Cr += Ar*Br
/*  mfmaIndex:29  */
v_mfma_f32_16x16x4f32 a[60+0:63+0], v[vgprValuB_X0_I0+6+0+0], v51, a[60:63]
 // Ci += -Ai*Br
/*  mfmaIndex:30  */
v_mfma_f32_16x16x4f32 a[28+0:31+0], v[vgprValuB_X0_I0+6+0+0+1], v[vgprValuA_X0_I0+2+0+0+1], a[28:31]
 // Cr += Ai*Bi
/*  mfmaIndex:31  */

/* local read swap offsets a */

/* local read swap offsets b */

/* local read init pointers a */

/* localReadInitPointers */

/* local read init pointers b */

/* localReadInitPointers */
v_mfma_f32_16x16x4f32 a[60+0:63+0], v[vgprValuB_X0_I0+6+0+0+1], v[vgprValuA_X0_I0+2+0+0], a[60:63]
 // Ci += Ar*Bi
/* numPrefetchIter=0 */
/* dataAtIterA=-1 numReadsIterA=1 skipReadsIterA=1 readsPerIterA=2 */
/* dataAtIterB=-1 numReadsIterB=1 skipReadsIterB=1 readsPerIterB=4 */


/* iter 1 (swap and reset local write pointers iteration)  */

/*  grEndMfmaIndex:2, lwStartMfmaIndex:11, lwEndMfmaIndex:56  */
/*  numMfmaForLR:5, barrierMfmaIndex:58, LocalWritePerMfma:0.045 */
/*  mfmaIndex:32  */
v_add_f32 v51, -v[vgprValuA_X1_I0+0+0+0+1], 0      // Ai=-Ai
v_mfma_f32_16x16x4f32 a[0+0:3+0], v[vgprValuB_X1_I0+0+0+0], v[vgprValuA_X1_I0+0+0+0], a[0:3]
 // Cr += Ar*Br
/*  mfmaIndex:33  */
/* sched write - iter 1 writesPerItem=2 */
s_waitcnt vmcnt(0)                                 // lgkmcnt=-1 vmcnt=0wait for global read before writing to local
_ds_store_b64 v[vgprLocalWriteAddrA], v[vgprG2LA+4:vgprG2LA+4+1] offset:512 // lwoA_0_0_1_0 = (0 + 0*LSCA)*(MT0I+PAD) + (1*LSPA) = 512
_ds_store_b64 v[vgprLocalWriteAddrA], v[vgprG2LA+6:vgprG2LA+6+1] offset:1552 // lwoA_0_1_1_0 = (1 + 0*LSCA)*(MT0I+PAD) + (1*LSPA) = 1552
v_mfma_f32_16x16x4f32 a[32+0:35+0], v[vgprValuB_X1_I0+0+0+0], v51, a[32:35]
 // Ci += -Ai*Br
/*  mfmaIndex:34  */
v_mfma_f32_16x16x4f32 a[0+0:3+0], v[vgprValuB_X1_I0+0+0+0+1], v[vgprValuA_X1_I0+0+0+0+1], a[0:3]
 // Cr += Ai*Bi
/*  mfmaIndex:35  */
v_mfma_f32_16x16x4f32 a[32+0:35+0], v[vgprValuB_X1_I0+0+0+0+1], v[vgprValuA_X1_I0+0+0+0], a[32:35]
 // Ci += Ar*Bi
/*  mfmaIndex:36  */
v_mfma_f32_16x16x4f32 a[8+0:11+0], v[vgprValuB_X1_I0+2+0+0], v[vgprValuA_X1_I0+0+0+0], a[8:11]
 // Cr += Ar*Br
/*  mfmaIndex:37  */
v_mfma_f32_16x16x4f32 a[40+0:43+0], v[vgprValuB_X1_I0+2+0+0], v51, a[40:43]
 // Ci += -Ai*Br
/*  mfmaIndex:38  */
v_mfma_f32_16x16x4f32 a[8+0:11+0], v[vgprValuB_X1_I0+2+0+0+1], v[vgprValuA_X1_I0+0+0+0+1], a[8:11]
 // Cr += Ai*Bi
/*  mfmaIndex:39  */
v_mfma_f32_16x16x4f32 a[40+0:43+0], v[vgprValuB_X1_I0+2+0+0+1], v[vgprValuA_X1_I0+0+0+0], a[40:43]
 // Ci += Ar*Bi
/*  mfmaIndex:40  */
v_mfma_f32_16x16x4f32 a[16+0:19+0], v[vgprValuB_X1_I0+4+0+0], v[vgprValuA_X1_I0+0+0+0], a[16:19]
 // Cr += Ar*Br
/*  mfmaIndex:41  */
	;; [unrolled: 12-line block ×3, first 2 shown]
v_mfma_f32_16x16x4f32 a[56+0:59+0], v[vgprValuB_X1_I0+6+0+0], v51, a[56:59]
 // Ci += -Ai*Br
/*  mfmaIndex:46  */
v_mfma_f32_16x16x4f32 a[24+0:27+0], v[vgprValuB_X1_I0+6+0+0+1], v[vgprValuA_X1_I0+0+0+0+1], a[24:27]
 // Cr += Ai*Bi
/*  mfmaIndex:47  */
v_mfma_f32_16x16x4f32 a[56+0:59+0], v[vgprValuB_X1_I0+6+0+0+1], v[vgprValuA_X1_I0+0+0+0], a[56:59]
 // Ci += Ar*Bi
/*  mfmaIndex:48  */
v_add_f32 v51, -v[vgprValuA_X1_I0+2+0+0+1], 0      // Ai=-Ai
v_mfma_f32_16x16x4f32 a[4+0:7+0], v[vgprValuB_X1_I0+0+0+0], v[vgprValuA_X1_I0+2+0+0], a[4:7]
 // Cr += Ar*Br
/*  mfmaIndex:49  */
v_mfma_f32_16x16x4f32 a[36+0:39+0], v[vgprValuB_X1_I0+0+0+0], v51, a[36:39]
 // Ci += -Ai*Br
/*  mfmaIndex:50  */
v_mfma_f32_16x16x4f32 a[4+0:7+0], v[vgprValuB_X1_I0+0+0+0+1], v[vgprValuA_X1_I0+2+0+0+1], a[4:7]
 // Cr += Ai*Bi
/*  mfmaIndex:51  */
v_mfma_f32_16x16x4f32 a[36+0:39+0], v[vgprValuB_X1_I0+0+0+0+1], v[vgprValuA_X1_I0+2+0+0], a[36:39]
 // Ci += Ar*Bi
/*  mfmaIndex:52  */
v_mfma_f32_16x16x4f32 a[12+0:15+0], v[vgprValuB_X1_I0+2+0+0], v[vgprValuA_X1_I0+2+0+0], a[12:15]
 // Cr += Ar*Br
/*  mfmaIndex:53  */
v_mfma_f32_16x16x4f32 a[44+0:47+0], v[vgprValuB_X1_I0+2+0+0], v51, a[44:47]
 // Ci += -Ai*Br
/*  mfmaIndex:54  */
v_mfma_f32_16x16x4f32 a[12+0:15+0], v[vgprValuB_X1_I0+2+0+0+1], v[vgprValuA_X1_I0+2+0+0+1], a[12:15]
 // Cr += Ai*Bi
/*  mfmaIndex:55  */
/* sched write - iter 1 writesPerItem=1 */
s_waitcnt vmcnt(0)                                 // lgkmcnt=-1 vmcnt=0wait for global read before writing to local
_ds_store_b128 v[vgprLocalWriteAddrB], v[vgprG2LB+0:vgprG2LB+0+3] offset:0 // lwoB_0_0_0_0 = (0*LSCB) + (0*LSPB)(*MT1J+PAD) = 0
v_mfma_f32_16x16x4f32 a[44+0:47+0], v[vgprValuB_X1_I0+2+0+0+1], v[vgprValuA_X1_I0+2+0+0], a[44:47]
 // Ci += Ar*Bi
/*  mfmaIndex:56  */

/* local write swap offsets a */

/* local write swap offsets b */
v_mfma_f32_16x16x4f32 a[20+0:23+0], v[vgprValuB_X1_I0+4+0+0], v[vgprValuA_X1_I0+2+0+0], a[20:23]
 // Cr += Ar*Br
/*  mfmaIndex:57  */
v_mfma_f32_16x16x4f32 a[52+0:55+0], v[vgprValuB_X1_I0+4+0+0], v51, a[52:55]
 // Ci += -Ai*Br
/*  mfmaIndex:58  */
s_waitcnt lgkmcnt(0)                               // lgkmcnt=0 vmcnt=-13wait for local write
// Skip force waitcnt0
s_barrier //
v_mfma_f32_16x16x4f32 a[20+0:23+0], v[vgprValuB_X1_I0+4+0+0+1], v[vgprValuA_X1_I0+2+0+0+1], a[20:23]
 // Cr += Ai*Bi
/*  mfmaIndex:59  */
_ds_load_b64 v[vgprValuA_X0_I0+0:vgprValuA_X0_I0+0+1], v[vgprLocalReadAddrA] offset:0 // L -> Reg lro=0 swapByteOffset=0 ti=128 vIdx=0 rIdx=0 oIdx=0 buffer=0 iui=0
_ds_load_b64 v[vgprValuB_X0_I0+0:vgprValuB_X0_I0+0+1], v[vgprLocalReadAddrB] offset:0 // L -> Reg lro=0 swapByteOffset=0 ti=16 vIdx=0 rIdx=0 oIdx=0 buffer=0 iui=0
v_mfma_f32_16x16x4f32 a[52+0:55+0], v[vgprValuB_X1_I0+4+0+0+1], v[vgprValuA_X1_I0+2+0+0], a[52:55]
 // Ci += Ar*Bi
/*  mfmaIndex:60  */
_ds_load_b64 v[vgprValuA_X0_I0+2:vgprValuA_X0_I0+2+1], v[vgprLocalReadAddrA] offset:8 // L -> Reg lro=0 swapByteOffset=0 ti=128 vIdx=0 rIdx=0 oIdx=0 buffer=0 iui=0
_ds_load_b64 v[vgprValuB_X0_I0+2:vgprValuB_X0_I0+2+1], v[vgprLocalReadAddrB] offset:128 // L -> Reg lro=0 swapByteOffset=0 ti=16 vIdx=1 rIdx=0 oIdx=0 buffer=0 iui=0
v_mfma_f32_16x16x4f32 a[28+0:31+0], v[vgprValuB_X1_I0+6+0+0], v[vgprValuA_X1_I0+2+0+0], a[28:31]
 // Cr += Ar*Br
/*  mfmaIndex:61  */
_ds_load_b64 v[vgprValuB_X0_I0+4:vgprValuB_X0_I0+4+1], v[vgprLocalReadAddrB] offset:256 // L -> Reg lro=0 swapByteOffset=0 ti=16 vIdx=2 rIdx=0 oIdx=0 buffer=0 iui=0
_ds_load_b64 v[vgprValuB_X0_I0+6:vgprValuB_X0_I0+6+1], v[vgprLocalReadAddrB] offset:384 // L -> Reg lro=0 swapByteOffset=0 ti=16 vIdx=3 rIdx=0 oIdx=0 buffer=0 iui=0
v_mfma_f32_16x16x4f32 a[60+0:63+0], v[vgprValuB_X1_I0+6+0+0], v51, a[60:63]
 // Ci += -Ai*Br
/*  mfmaIndex:62  */
v_mfma_f32_16x16x4f32 a[28+0:31+0], v[vgprValuB_X1_I0+6+0+0+1], v[vgprValuA_X1_I0+2+0+0+1], a[28:31]
 // Cr += Ai*Bi
/*  mfmaIndex:63  */
v_mfma_f32_16x16x4f32 a[60+0:63+0], v[vgprValuB_X1_I0+6+0+0+1], v[vgprValuA_X1_I0+2+0+0], a[60:63]
 // Ci += Ar*Bi

label_0016:


/******************************************/
/* Ord. NoLoadLoop - Begin                                      */
/******************************************/




/* iter 0 (last unrolled loop) */

/*  grEndMfmaIndex:0, lwStartMfmaIndex:56, lwEndMfmaIndex:56  */
/*  numMfmaForLR:5, barrierMfmaIndex:58, LocalWritePerMfma:0.045 */
/*  mfmaIndex:0  */
s_waitcnt lgkmcnt(0)                               // lgkmcnt=0 vmcnt=-1wait for prior local read local write old=0, new=0 newLW=0 newLR=0
v_add_f32 v51, -v[vgprValuA_X0_I0+0+0+0+1], 0      // Ai=-Ai
v_mfma_f32_16x16x4f32 a[0+0:3+0], v[vgprValuB_X0_I0+0+0+0], v[vgprValuA_X0_I0+0+0+0], a[0:3]
 // Cr += Ar*Br
/*  mfmaIndex:1  */
_ds_load_b64 v[vgprValuA_X1_I0+0:vgprValuA_X1_I0+0+1], v[vgprLocalReadAddrA] offset:4160 // L -> Reg lro=520 swapByteOffset=0 ti=128 vIdx=0 rIdx=0 oIdx=0 buffer=1 iui=0
_ds_load_b64 v[vgprValuB_X1_I0+0:vgprValuB_X1_I0+0+1], v[vgprLocalReadAddrB] offset:2048 // L -> Reg lro=256 swapByteOffset=0 ti=16 vIdx=0 rIdx=0 oIdx=0 buffer=1 iui=0
v_mfma_f32_16x16x4f32 a[32+0:35+0], v[vgprValuB_X0_I0+0+0+0], v51, a[32:35]
 // Ci += -Ai*Br
/*  mfmaIndex:2  */
_ds_load_b64 v[vgprValuA_X1_I0+2:vgprValuA_X1_I0+2+1], v[vgprLocalReadAddrA] offset:4168 // L -> Reg lro=520 swapByteOffset=0 ti=128 vIdx=0 rIdx=0 oIdx=0 buffer=1 iui=0
_ds_load_b64 v[vgprValuB_X1_I0+2:vgprValuB_X1_I0+2+1], v[vgprLocalReadAddrB] offset:2176 // L -> Reg lro=256 swapByteOffset=0 ti=16 vIdx=1 rIdx=0 oIdx=0 buffer=1 iui=0
v_mfma_f32_16x16x4f32 a[0+0:3+0], v[vgprValuB_X0_I0+0+0+0+1], v[vgprValuA_X0_I0+0+0+0+1], a[0:3]
 // Cr += Ai*Bi
/*  mfmaIndex:3  */
_ds_load_b64 v[vgprValuB_X1_I0+4:vgprValuB_X1_I0+4+1], v[vgprLocalReadAddrB] offset:2304 // L -> Reg lro=256 swapByteOffset=0 ti=16 vIdx=2 rIdx=0 oIdx=0 buffer=1 iui=0
_ds_load_b64 v[vgprValuB_X1_I0+6:vgprValuB_X1_I0+6+1], v[vgprLocalReadAddrB] offset:2432 // L -> Reg lro=256 swapByteOffset=0 ti=16 vIdx=3 rIdx=0 oIdx=0 buffer=1 iui=0
/* localReadsVacancy: latencyLeft 1 */
v_mfma_f32_16x16x4f32 a[32+0:35+0], v[vgprValuB_X0_I0+0+0+0+1], v[vgprValuA_X0_I0+0+0+0], a[32:35]
 // Ci += Ar*Bi
/*  mfmaIndex:4  */
/* localReadsVacancy: latencyLeft 5 */
v_mfma_f32_16x16x4f32 a[8+0:11+0], v[vgprValuB_X0_I0+2+0+0], v[vgprValuA_X0_I0+0+0+0], a[8:11]
 // Cr += Ar*Br
/*  mfmaIndex:5  */
/* localReadsVacancy: latencyLeft 5 */
v_mfma_f32_16x16x4f32 a[40+0:43+0], v[vgprValuB_X0_I0+2+0+0], v51, a[40:43]
 // Ci += -Ai*Br
/*  mfmaIndex:6  */
/* localReadsVacancy: latencyLeft 5 */
v_mfma_f32_16x16x4f32 a[8+0:11+0], v[vgprValuB_X0_I0+2+0+0+1], v[vgprValuA_X0_I0+0+0+0+1], a[8:11]
 // Cr += Ai*Bi
/*  mfmaIndex:7  */
/* localReadsVacancy: latencyLeft 5 */
v_mfma_f32_16x16x4f32 a[40+0:43+0], v[vgprValuB_X0_I0+2+0+0+1], v[vgprValuA_X0_I0+0+0+0], a[40:43]
 // Ci += Ar*Bi
/*  mfmaIndex:8  */
/* localReadsVacancy: latencyLeft 5 */
v_mfma_f32_16x16x4f32 a[16+0:19+0], v[vgprValuB_X0_I0+4+0+0], v[vgprValuA_X0_I0+0+0+0], a[16:19]
 // Cr += Ar*Br
/*  mfmaIndex:9  */
/* localReadsVacancy: latencyLeft 5 */
v_mfma_f32_16x16x4f32 a[48+0:51+0], v[vgprValuB_X0_I0+4+0+0], v51, a[48:51]
 // Ci += -Ai*Br
/*  mfmaIndex:10  */
/* localReadsVacancy: latencyLeft 5 */
v_mfma_f32_16x16x4f32 a[16+0:19+0], v[vgprValuB_X0_I0+4+0+0+1], v[vgprValuA_X0_I0+0+0+0+1], a[16:19]
 // Cr += Ai*Bi
/*  mfmaIndex:11  */
	;; [unrolled: 16-line block ×3, first 2 shown]
/* localReadsVacancy: latencyLeft 5 */
v_mfma_f32_16x16x4f32 a[56+0:59+0], v[vgprValuB_X0_I0+6+0+0+1], v[vgprValuA_X0_I0+0+0+0], a[56:59]
 // Ci += Ar*Bi
/*  mfmaIndex:16  */
/* localReadsVacancy: latencyLeft 5 */
v_add_f32 v51, -v[vgprValuA_X0_I0+2+0+0+1], 0      // Ai=-Ai
v_mfma_f32_16x16x4f32 a[4+0:7+0], v[vgprValuB_X0_I0+0+0+0], v[vgprValuA_X0_I0+2+0+0], a[4:7]
 // Cr += Ar*Br
/*  mfmaIndex:17  */
/* localReadsVacancy: latencyLeft 5 */
v_mfma_f32_16x16x4f32 a[36+0:39+0], v[vgprValuB_X0_I0+0+0+0], v51, a[36:39]
 // Ci += -Ai*Br
/*  mfmaIndex:18  */
/* localReadsVacancy: latencyLeft 5 */
v_mfma_f32_16x16x4f32 a[4+0:7+0], v[vgprValuB_X0_I0+0+0+0+1], v[vgprValuA_X0_I0+2+0+0+1], a[4:7]
 // Cr += Ai*Bi
/*  mfmaIndex:19  */
/* localReadsVacancy: latencyLeft 5 */
v_mfma_f32_16x16x4f32 a[36+0:39+0], v[vgprValuB_X0_I0+0+0+0+1], v[vgprValuA_X0_I0+2+0+0], a[36:39]
 // Ci += Ar*Bi
/*  mfmaIndex:20  */
/* localReadsVacancy: latencyLeft 5 */
v_mfma_f32_16x16x4f32 a[12+0:15+0], v[vgprValuB_X0_I0+2+0+0], v[vgprValuA_X0_I0+2+0+0], a[12:15]
 // Cr += Ar*Br
/*  mfmaIndex:21  */
/* localReadsVacancy: latencyLeft 5 */
v_mfma_f32_16x16x4f32 a[44+0:47+0], v[vgprValuB_X0_I0+2+0+0], v51, a[44:47]
 // Ci += -Ai*Br
/*  mfmaIndex:22  */
/* localReadsVacancy: latencyLeft 5 */
v_mfma_f32_16x16x4f32 a[12+0:15+0], v[vgprValuB_X0_I0+2+0+0+1], v[vgprValuA_X0_I0+2+0+0+1], a[12:15]
 // Cr += Ai*Bi
/*  mfmaIndex:23  */
/* localReadsVacancy: latencyLeft 5 */
v_mfma_f32_16x16x4f32 a[44+0:47+0], v[vgprValuB_X0_I0+2+0+0+1], v[vgprValuA_X0_I0+2+0+0], a[44:47]
 // Ci += Ar*Bi
/*  mfmaIndex:24  */
/* localReadsVacancy: latencyLeft 5 */
	;; [unrolled: 16-line block ×3, first 2 shown]
v_mfma_f32_16x16x4f32 a[28+0:31+0], v[vgprValuB_X0_I0+6+0+0], v[vgprValuA_X0_I0+2+0+0], a[28:31]
 // Cr += Ar*Br
/*  mfmaIndex:29  */
/* localReadsVacancy: latencyLeft 5 */
v_mfma_f32_16x16x4f32 a[60+0:63+0], v[vgprValuB_X0_I0+6+0+0], v51, a[60:63]
 // Ci += -Ai*Br
/*  mfmaIndex:30  */
/* localReadsVacancy: latencyLeft 5 */
v_mfma_f32_16x16x4f32 a[28+0:31+0], v[vgprValuB_X0_I0+6+0+0+1], v[vgprValuA_X0_I0+2+0+0+1], a[28:31]
 // Cr += Ai*Bi
/*  mfmaIndex:31  */
/* localReadsVacancy: latencyLeft 5 */
v_mfma_f32_16x16x4f32 a[60+0:63+0], v[vgprValuB_X0_I0+6+0+0+1], v[vgprValuA_X0_I0+2+0+0], a[60:63]
 // Ci += Ar*Bi
/* numPrefetchIter=0 */
/* dataAtIterA=-1 numReadsIterA=1 skipReadsIterA=1 readsPerIterA=2 */
/* dataAtIterB=-1 numReadsIterB=1 skipReadsIterB=1 readsPerIterB=4 */


/* iter 1 (last unrolled loop) */

/*  grEndMfmaIndex:0, lwStartMfmaIndex:56, lwEndMfmaIndex:56  */
/*  numMfmaForLR:5, barrierMfmaIndex:58, LocalWritePerMfma:0.045 */
/*  mfmaIndex:32  */
s_waitcnt lgkmcnt(0)                               // lgkmcnt=0 vmcnt=-1wait for prior local read local write old=0, new=0 newLW=0 newLR=0
v_add_f32 v51, -v[vgprValuA_X1_I0+0+0+0+1], 0      // Ai=-Ai
v_mfma_f32_16x16x4f32 a[0+0:3+0], v[vgprValuB_X1_I0+0+0+0], v[vgprValuA_X1_I0+0+0+0], a[0:3]
 // Cr += Ar*Br
/*  mfmaIndex:33  */
v_mfma_f32_16x16x4f32 a[32+0:35+0], v[vgprValuB_X1_I0+0+0+0], v51, a[32:35]
 // Ci += -Ai*Br
/*  mfmaIndex:34  */
v_mfma_f32_16x16x4f32 a[0+0:3+0], v[vgprValuB_X1_I0+0+0+0+1], v[vgprValuA_X1_I0+0+0+0+1], a[0:3]
 // Cr += Ai*Bi
/*  mfmaIndex:35  */
v_mfma_f32_16x16x4f32 a[32+0:35+0], v[vgprValuB_X1_I0+0+0+0+1], v[vgprValuA_X1_I0+0+0+0], a[32:35]
 // Ci += Ar*Bi
/*  mfmaIndex:36  */
v_mfma_f32_16x16x4f32 a[8+0:11+0], v[vgprValuB_X1_I0+2+0+0], v[vgprValuA_X1_I0+0+0+0], a[8:11]
 // Cr += Ar*Br
/*  mfmaIndex:37  */
v_mfma_f32_16x16x4f32 a[40+0:43+0], v[vgprValuB_X1_I0+2+0+0], v51, a[40:43]
 // Ci += -Ai*Br
/*  mfmaIndex:38  */
v_mfma_f32_16x16x4f32 a[8+0:11+0], v[vgprValuB_X1_I0+2+0+0+1], v[vgprValuA_X1_I0+0+0+0+1], a[8:11]
 // Cr += Ai*Bi
/*  mfmaIndex:39  */
v_mfma_f32_16x16x4f32 a[40+0:43+0], v[vgprValuB_X1_I0+2+0+0+1], v[vgprValuA_X1_I0+0+0+0], a[40:43]
 // Ci += Ar*Bi
/*  mfmaIndex:40  */
v_mfma_f32_16x16x4f32 a[16+0:19+0], v[vgprValuB_X1_I0+4+0+0], v[vgprValuA_X1_I0+0+0+0], a[16:19]
 // Cr += Ar*Br
/*  mfmaIndex:41  */
v_mfma_f32_16x16x4f32 a[48+0:51+0], v[vgprValuB_X1_I0+4+0+0], v51, a[48:51]
 // Ci += -Ai*Br
/*  mfmaIndex:42  */
v_mfma_f32_16x16x4f32 a[16+0:19+0], v[vgprValuB_X1_I0+4+0+0+1], v[vgprValuA_X1_I0+0+0+0+1], a[16:19]
 // Cr += Ai*Bi
/*  mfmaIndex:43  */
v_mfma_f32_16x16x4f32 a[48+0:51+0], v[vgprValuB_X1_I0+4+0+0+1], v[vgprValuA_X1_I0+0+0+0], a[48:51]
 // Ci += Ar*Bi
/*  mfmaIndex:44  */
v_mfma_f32_16x16x4f32 a[24+0:27+0], v[vgprValuB_X1_I0+6+0+0], v[vgprValuA_X1_I0+0+0+0], a[24:27]
 // Cr += Ar*Br
/*  mfmaIndex:45  */
v_mfma_f32_16x16x4f32 a[56+0:59+0], v[vgprValuB_X1_I0+6+0+0], v51, a[56:59]
 // Ci += -Ai*Br
/*  mfmaIndex:46  */
v_mfma_f32_16x16x4f32 a[24+0:27+0], v[vgprValuB_X1_I0+6+0+0+1], v[vgprValuA_X1_I0+0+0+0+1], a[24:27]
 // Cr += Ai*Bi
/*  mfmaIndex:47  */
v_mfma_f32_16x16x4f32 a[56+0:59+0], v[vgprValuB_X1_I0+6+0+0+1], v[vgprValuA_X1_I0+0+0+0], a[56:59]
 // Ci += Ar*Bi
/*  mfmaIndex:48  */
v_add_f32 v51, -v[vgprValuA_X1_I0+2+0+0+1], 0      // Ai=-Ai
v_mfma_f32_16x16x4f32 a[4+0:7+0], v[vgprValuB_X1_I0+0+0+0], v[vgprValuA_X1_I0+2+0+0], a[4:7]
 // Cr += Ar*Br
/*  mfmaIndex:49  */
v_mfma_f32_16x16x4f32 a[36+0:39+0], v[vgprValuB_X1_I0+0+0+0], v51, a[36:39]
 // Ci += -Ai*Br
/*  mfmaIndex:50  */
v_mfma_f32_16x16x4f32 a[4+0:7+0], v[vgprValuB_X1_I0+0+0+0+1], v[vgprValuA_X1_I0+2+0+0+1], a[4:7]
 // Cr += Ai*Bi
/*  mfmaIndex:51  */
v_mfma_f32_16x16x4f32 a[36+0:39+0], v[vgprValuB_X1_I0+0+0+0+1], v[vgprValuA_X1_I0+2+0+0], a[36:39]
 // Ci += Ar*Bi
/*  mfmaIndex:52  */
v_mfma_f32_16x16x4f32 a[12+0:15+0], v[vgprValuB_X1_I0+2+0+0], v[vgprValuA_X1_I0+2+0+0], a[12:15]
 // Cr += Ar*Br
/*  mfmaIndex:53  */
v_mfma_f32_16x16x4f32 a[44+0:47+0], v[vgprValuB_X1_I0+2+0+0], v51, a[44:47]
 // Ci += -Ai*Br
/*  mfmaIndex:54  */
v_mfma_f32_16x16x4f32 a[12+0:15+0], v[vgprValuB_X1_I0+2+0+0+1], v[vgprValuA_X1_I0+2+0+0+1], a[12:15]
 // Cr += Ai*Bi
/*  mfmaIndex:55  */
/* 1 LDS buffer: read-sync-write */
s_waitcnt lgkmcnt(0)                               // 
s_barrier                                          // 
v_mfma_f32_16x16x4f32 a[44+0:47+0], v[vgprValuB_X1_I0+2+0+0+1], v[vgprValuA_X1_I0+2+0+0], a[44:47]
 // Ci += Ar*Bi
/*  mfmaIndex:56  */
v_mfma_f32_16x16x4f32 a[20+0:23+0], v[vgprValuB_X1_I0+4+0+0], v[vgprValuA_X1_I0+2+0+0], a[20:23]
 // Cr += Ar*Br
/*  mfmaIndex:57  */
v_mfma_f32_16x16x4f32 a[52+0:55+0], v[vgprValuB_X1_I0+4+0+0], v51, a[52:55]
 // Ci += -Ai*Br
/*  mfmaIndex:58  */
v_mfma_f32_16x16x4f32 a[20+0:23+0], v[vgprValuB_X1_I0+4+0+0+1], v[vgprValuA_X1_I0+2+0+0+1], a[20:23]
 // Cr += Ai*Bi
/*  mfmaIndex:59  */
v_mfma_f32_16x16x4f32 a[52+0:55+0], v[vgprValuB_X1_I0+4+0+0+1], v[vgprValuA_X1_I0+2+0+0], a[52:55]
 // Ci += Ar*Bi
/*  mfmaIndex:60  */
v_mfma_f32_16x16x4f32 a[28+0:31+0], v[vgprValuB_X1_I0+6+0+0], v[vgprValuA_X1_I0+2+0+0], a[28:31]
 // Cr += Ar*Br
/*  mfmaIndex:61  */
v_mfma_f32_16x16x4f32 a[60+0:63+0], v[vgprValuB_X1_I0+6+0+0], v51, a[60:63]
 // Ci += -Ai*Br
/*  mfmaIndex:62  */
v_mfma_f32_16x16x4f32 a[28+0:31+0], v[vgprValuB_X1_I0+6+0+0+1], v[vgprValuA_X1_I0+2+0+0+1], a[28:31]
 // Cr += Ai*Bi
/*  mfmaIndex:63  */
v_mfma_f32_16x16x4f32 a[60+0:63+0], v[vgprValuB_X1_I0+6+0+0+1], v[vgprValuA_X1_I0+2+0+0], a[60:63]
 // Ci += Ar*Bi
/* numPrefetchIter=0 */
/* dataAtIterA=0 numReadsIterA=1 skipReadsIterA=0 readsPerIterA=2 */
/* dataAtIterB=0 numReadsIterB=1 skipReadsIterB=0 readsPerIterB=4 */

PrefetchGlobalLastIterEnd_5:


/******************************************/
/* Tail Loop                              */
/******************************************/


/* local write reset offsets a */


	;; [unrolled: 1-line block ×3, first 2 shown]
/* local write reset offsets b */


	;; [unrolled: 1-line block ×3, first 2 shown]
//numIterL = (((sizeL % LOCAL_DEPTHU) + LOCAL_SPLITU - 1) / LOCAL_SPLITU)
s_and_b32 s[sgprLoopCounterL], 7, s[sgprSizesSum+0] // s[sgprLoopCounterL] = s[sgprSizesSum+0] % 8
s_cmp_eq_u32 s[sgprLoopCounterL], 0x0              // numIterL == 0
s_cbranch_scc1 SkipTailLoopL_8                     // skip to end of tail loop b/c numIter==0
s_mov_b32 s[sgprOrigLoopCounter], 0                // repurpose to count each localRead increment


/* Update M0 for DTLDS */


	;; [unrolled: 1-line block ×3, first 2 shown]
/* global read a */

/* global addressing - max read address = Tensor2dSizeA */
s_mul_hi_u32 s21, s[sgprWorkGroup2], s[sgprStrideAK] // 64b tensorA size in elements
s_mul_i32 s20, s[sgprWorkGroup2], s[sgprStrideAK]  // 64b tensorA size in elements
s_add_u32 s20, s[sgprTensor2dSizeA], s20           // add Tensor2dSizeA
s_addc_u32 s21, s[sgprTensor2dSizeA+1], s21        // add Tensor2dSizeA
s_lshl_b64 s[20:21], s[20:21], 0x3                 // <- tensorA size in bytes
s_add_u32 s20, s16, s20                            // prepend address lower
s_addc_u32 s21, s17, s21                           // prepend address upper
v_mov_b32 v52, s20                                 // sgpr->vgpr
v_mov_b32 v53, s21                                 // sgpr->vgpr
s_mov_b64 s[20:21], 0xFFFFFFFFFFFFFFFF             // to restore all threads active
v_mov_b32 v51, 0x8                                 // bpe*numElementsPerLoad
v_mov_b32 v54, 0x0                                 // zero
/* g2l=0, load component 0 */
_v_cmpx_lt_u64 vcc, v[vgprGlobalReadAddrA+0:vgprGlobalReadAddrA+0+1], v[52:53] // addr < maxAddr
_global_load_b64 v[vgprG2LA+0+0:vgprG2LA+0+0+1], v[vgprGlobalReadAddrA+0:vgprGlobalReadAddrA+0+1], off, offset:0 // load one global value
s_or_saveexec_b64 vcc, s[20:21]                    // all threads active
_v_add_co_u32 v[vgprGlobalReadAddrA+0+0], vcc, v[vgprGlobalReadAddrA+0+0], v51 // gra += 1 (lower)
_v_addc_co_u32 v[vgprGlobalReadAddrA+0+1], vcc, v[vgprGlobalReadAddrA+0+1], v54, vcc // gra += 1 (upper)
/* g2l=0, load component 1 */
_v_cmpx_lt_u64 vcc, v[vgprGlobalReadAddrA+0:vgprGlobalReadAddrA+0+1], v[52:53] // addr < maxAddr
_global_load_b64 v[vgprG2LA+0+2:vgprG2LA+0+2+1], v[vgprGlobalReadAddrA+0:vgprGlobalReadAddrA+0+1], off, offset:0 // load one global value
s_or_saveexec_b64 vcc, s[20:21]                    // all threads active
_v_add_co_u32 v[vgprGlobalReadAddrA+0+0], vcc, v[vgprGlobalReadAddrA+0+0], v51 // gra += 1 (lower)
_v_addc_co_u32 v[vgprGlobalReadAddrA+0+1], vcc, v[vgprGlobalReadAddrA+0+1], v54, vcc // gra += 1 (upper)
	;; [unrolled: 6-line block ×4, first 2 shown]


/* Update M0 for DTLDS */


	;; [unrolled: 1-line block ×3, first 2 shown]
/* global read b */

/* global addressing - max read address = Tensor2dSizeB */
s_mul_hi_u32 s21, s[sgprWorkGroup2], s[sgprStrideBK] // 64b tensorB size in elements
s_mul_i32 s20, s[sgprWorkGroup2], s[sgprStrideBK]  // 64b tensorB size in elements
s_add_u32 s20, s[sgprTensor2dSizeB], s20           // add Tensor2dSizeB
s_addc_u32 s21, s[sgprTensor2dSizeB+1], s21        // add Tensor2dSizeB
s_lshl_b64 s[20:21], s[20:21], 0x3                 // <- tensorB size in bytes
s_add_u32 s20, s18, s20                            // prepend address lower
s_addc_u32 s21, s19, s21                           // prepend address upper
v_mov_b32 v52, s20                                 // sgpr->vgpr
v_mov_b32 v53, s21                                 // sgpr->vgpr
s_mov_b64 s[20:21], 0xFFFFFFFFFFFFFFFF             // to restore all threads active
v_mov_b32 v51, 0x8                                 // bpe*numElementsPerLoad
v_mov_b32 v54, 0x0                                 // zero
/* g2l=0, load component 0 */
_v_cmpx_lt_u64 vcc, v[vgprGlobalReadAddrB+0:vgprGlobalReadAddrB+0+1], v[52:53] // addr < maxAddr
_global_load_b64 v[vgprG2LB+0+0:vgprG2LB+0+0+1], v[vgprGlobalReadAddrB+0:vgprGlobalReadAddrB+0+1], off, offset:0 // load one global value
s_or_saveexec_b64 vcc, s[20:21]                    // all threads active
_v_add_co_u32 v[vgprGlobalReadAddrB+0+0], vcc, v[vgprGlobalReadAddrB+0+0], v51 // gra += 1 (lower)
_v_addc_co_u32 v[vgprGlobalReadAddrB+0+1], vcc, v[vgprGlobalReadAddrB+0+1], v54, vcc // gra += 1 (upper)
/* g2l=0, load component 1 */
_v_cmpx_lt_u64 vcc, v[vgprGlobalReadAddrB+0:vgprGlobalReadAddrB+0+1], v[52:53] // addr < maxAddr
_global_load_b64 v[vgprG2LB+0+2:vgprG2LB+0+2+1], v[vgprGlobalReadAddrB+0:vgprGlobalReadAddrB+0+1], off, offset:0 // load one global value
s_or_saveexec_b64 vcc, s[20:21]                    // all threads active
_v_add_co_u32 v[vgprGlobalReadAddrB+0+0], vcc, v[vgprGlobalReadAddrB+0+0], v51 // gra += 1 (lower)
_v_addc_co_u32 v[vgprGlobalReadAddrB+0+1], vcc, v[vgprGlobalReadAddrB+0+1], v54, vcc // gra += 1 (upper)

s_waitcnt vmcnt(0)                                 // lgkmcnt=-1 vmcnt=02wait for global read

// Skip force waitcnt0
s_barrier //


/* Done global A/B reads */


	;; [unrolled: 1-line block ×4, first 2 shown]
/* local write a */

_ds_store_b64 v[vgprLocalWriteAddrA], v[vgprG2LA+0:vgprG2LA+0+1] offset:0 // lwoA_0_0_0_0 = (0 + 0*LSCA)*(MT0I+PAD) + (0*LSPA) = 0
_ds_store_b64 v[vgprLocalWriteAddrA], v[vgprG2LA+2:vgprG2LA+2+1] offset:1040 // lwoA_0_1_0_0 = (1 + 0*LSCA)*(MT0I+PAD) + (0*LSPA) = 1040
_ds_store_b64 v[vgprLocalWriteAddrA], v[vgprG2LA+4:vgprG2LA+4+1] offset:512 // lwoA_0_0_1_0 = (0 + 0*LSCA)*(MT0I+PAD) + (1*LSPA) = 512
_ds_store_b64 v[vgprLocalWriteAddrA], v[vgprG2LA+6:vgprG2LA+6+1] offset:1552 // lwoA_0_1_1_0 = (1 + 0*LSCA)*(MT0I+PAD) + (1*LSPA) = 1552


/* local write b */

_ds_store_b128 v[vgprLocalWriteAddrB], v[vgprG2LB+0:vgprG2LB+0+3] offset:0 // lwoB_0_0_0_0 = (0*LSCB) + (0*LSPB)(*MT1J+PAD) = 0


/* Recalc local read offsets */


s_waitcnt lgkmcnt(0)                               // lgkmcnt=0 vmcnt=-15wait for local write

// Skip force waitcnt0
s_barrier //


/* local read reset offsets a */


	;; [unrolled: 1-line block ×3, first 2 shown]
/* local read reset offsets b */


	;; [unrolled: 1-line block ×3, first 2 shown]
/* local read init pointers a */


/* localReadInitPointers */


/* local read init pointers b */


/* localReadInitPointers */


/* tail loop: macs */

TailLoopBeginL_6:


/* local read a */

_ds_load_b64 v[vgprValuA_X0_I0+0:vgprValuA_X0_I0+0+1], v[vgprLocalReadAddrA] offset:0 // L -> Reg lro=0 swapByteOffset=0 ti=128 vIdx=0 rIdx=0 oIdx=0 buffer=0 iui=0
_ds_load_b64 v[vgprValuA_X0_I0+2:vgprValuA_X0_I0+2+1], v[vgprLocalReadAddrA] offset:8 // L -> Reg lro=0 swapByteOffset=0 ti=128 vIdx=0 rIdx=0 oIdx=0 buffer=0 iui=0


/* local read b */

_ds_load_b64 v[vgprValuB_X0_I0+0:vgprValuB_X0_I0+0+1], v[vgprLocalReadAddrB] offset:0 // L -> Reg lro=0 swapByteOffset=0 ti=16 vIdx=0 rIdx=0 oIdx=0 buffer=0 iui=0
_ds_load_b64 v[vgprValuB_X0_I0+2:vgprValuB_X0_I0+2+1], v[vgprLocalReadAddrB] offset:128 // L -> Reg lro=0 swapByteOffset=0 ti=16 vIdx=1 rIdx=0 oIdx=0 buffer=0 iui=0
	;; [unrolled: 1-line block ×4, first 2 shown]


/* local read inc a */

s_mov_b32 s7, 0x1040                               // inc
_v_add_co_u32 v[vgprLocalReadAddrA], vcc, s7, v[vgprLocalReadAddrA] // lrA += 4160 (LSU*(MT+PAD)*bpe)


/* local read inc b */

s_mov_b32 s7, 0x800                                // inc
_v_add_co_u32 v[vgprLocalReadAddrB], vcc, s7, v[vgprLocalReadAddrB] // lrB += 2048 (LSU*(MT+PAD)*bpe)

s_waitcnt lgkmcnt(0)                               // lgkmcnt=0 vmcnt=-14wait for local read


	;; [unrolled: 1-line block ×3, first 2 shown]
/* tail loop mfma iter 0: numReadsIterCoalescedA=1, numReadsIterCoalescedB=1 */
v_and_b32 v51, 63, v[vgprSerial]                   // v51 = v[vgprSerial] % 64
v_lshrrev_b32 v51, 4, v51                          // v51 = v51 / 16
                                                   // v51 = v51 * 1 (multiplier is 1, do nothing)
v_cmp_ge_i32 s[20:21], v51, s[sgprLoopCounterL]    // check K index >= Size L
v_cndmask_b32 v[vgprValuA_X0_I0+0+0+0+0], v[vgprValuA_X0_I0+0+0+0+0], 0x0, s[20:21] // set 0 if K_idx >= sizeL
v_cndmask_b32 v[vgprValuA_X0_I0+2+0+0+0], v[vgprValuA_X0_I0+2+0+0+0], 0x0, s[20:21] // set 0 if K_idx >= sizeL
v_cndmask_b32 v[vgprValuB_X0_I0+0+0+0+0], v[vgprValuB_X0_I0+0+0+0+0], 0x0, s[20:21] // set 0 if K_idx >= sizeL
v_cndmask_b32 v[vgprValuB_X0_I0+2+0+0+0], v[vgprValuB_X0_I0+2+0+0+0], 0x0, s[20:21] // set 0 if K_idx >= sizeL
	;; [unrolled: 1-line block ×4, first 2 shown]
v_cndmask_b32 v[vgprValuA_X0_I0+0+0+0+1], v[vgprValuA_X0_I0+0+0+0+1], 0x0, s[20:21] // set 0 if K_idx >= sizeL
v_cndmask_b32 v[vgprValuA_X0_I0+2+0+0+1], v[vgprValuA_X0_I0+2+0+0+1], 0x0, s[20:21] // set 0 if K_idx >= sizeL
v_cndmask_b32 v[vgprValuB_X0_I0+0+0+0+1], v[vgprValuB_X0_I0+0+0+0+1], 0x0, s[20:21] // set 0 if K_idx >= sizeL
v_cndmask_b32 v[vgprValuB_X0_I0+2+0+0+1], v[vgprValuB_X0_I0+2+0+0+1], 0x0, s[20:21] // set 0 if K_idx >= sizeL
	;; [unrolled: 1-line block ×4, first 2 shown]
s_nop 1
v_add_f32 v51, -v[vgprValuA_X0_I0+0+0+0+1], 0      // Ai=-Ai
v_mfma_f32_16x16x4f32 a[0+0:3+0], v[vgprValuB_X0_I0+0+0+0], v[vgprValuA_X0_I0+0+0+0], a[0:3]
 // Cr += Ar*Br
v_mfma_f32_16x16x4f32 a[32+0:35+0], v[vgprValuB_X0_I0+0+0+0], v51, a[32:35]
 // Ci += -Ai*Br
v_mfma_f32_16x16x4f32 a[0+0:3+0], v[vgprValuB_X0_I0+0+0+0+1], v[vgprValuA_X0_I0+0+0+0+1], a[0:3]
 // Cr += Ai*Bi
v_mfma_f32_16x16x4f32 a[32+0:35+0], v[vgprValuB_X0_I0+0+0+0+1], v[vgprValuA_X0_I0+0+0+0], a[32:35]
 // Ci += Ar*Bi
v_mfma_f32_16x16x4f32 a[8+0:11+0], v[vgprValuB_X0_I0+2+0+0], v[vgprValuA_X0_I0+0+0+0], a[8:11]
 // Cr += Ar*Br
v_mfma_f32_16x16x4f32 a[40+0:43+0], v[vgprValuB_X0_I0+2+0+0], v51, a[40:43]
 // Ci += -Ai*Br
v_mfma_f32_16x16x4f32 a[8+0:11+0], v[vgprValuB_X0_I0+2+0+0+1], v[vgprValuA_X0_I0+0+0+0+1], a[8:11]
 // Cr += Ai*Bi
v_mfma_f32_16x16x4f32 a[40+0:43+0], v[vgprValuB_X0_I0+2+0+0+1], v[vgprValuA_X0_I0+0+0+0], a[40:43]
 // Ci += Ar*Bi
	;; [unrolled: 8-line block ×4, first 2 shown]
v_add_f32 v51, -v[vgprValuA_X0_I0+2+0+0+1], 0      // Ai=-Ai
v_mfma_f32_16x16x4f32 a[4+0:7+0], v[vgprValuB_X0_I0+0+0+0], v[vgprValuA_X0_I0+2+0+0], a[4:7]
 // Cr += Ar*Br
v_mfma_f32_16x16x4f32 a[36+0:39+0], v[vgprValuB_X0_I0+0+0+0], v51, a[36:39]
 // Ci += -Ai*Br
v_mfma_f32_16x16x4f32 a[4+0:7+0], v[vgprValuB_X0_I0+0+0+0+1], v[vgprValuA_X0_I0+2+0+0+1], a[4:7]
 // Cr += Ai*Bi
v_mfma_f32_16x16x4f32 a[36+0:39+0], v[vgprValuB_X0_I0+0+0+0+1], v[vgprValuA_X0_I0+2+0+0], a[36:39]
 // Ci += Ar*Bi
v_mfma_f32_16x16x4f32 a[12+0:15+0], v[vgprValuB_X0_I0+2+0+0], v[vgprValuA_X0_I0+2+0+0], a[12:15]
 // Cr += Ar*Br
v_mfma_f32_16x16x4f32 a[44+0:47+0], v[vgprValuB_X0_I0+2+0+0], v51, a[44:47]
 // Ci += -Ai*Br
v_mfma_f32_16x16x4f32 a[12+0:15+0], v[vgprValuB_X0_I0+2+0+0+1], v[vgprValuA_X0_I0+2+0+0+1], a[12:15]
 // Cr += Ai*Bi
v_mfma_f32_16x16x4f32 a[44+0:47+0], v[vgprValuB_X0_I0+2+0+0+1], v[vgprValuA_X0_I0+2+0+0], a[44:47]
 // Ci += Ar*Bi
v_mfma_f32_16x16x4f32 a[20+0:23+0], v[vgprValuB_X0_I0+4+0+0], v[vgprValuA_X0_I0+2+0+0], a[20:23]
 // Cr += Ar*Br
v_mfma_f32_16x16x4f32 a[52+0:55+0], v[vgprValuB_X0_I0+4+0+0], v51, a[52:55]
 // Ci += -Ai*Br
v_mfma_f32_16x16x4f32 a[20+0:23+0], v[vgprValuB_X0_I0+4+0+0+1], v[vgprValuA_X0_I0+2+0+0+1], a[20:23]
 // Cr += Ai*Bi
v_mfma_f32_16x16x4f32 a[52+0:55+0], v[vgprValuB_X0_I0+4+0+0+1], v[vgprValuA_X0_I0+2+0+0], a[52:55]
 // Ci += Ar*Bi
v_mfma_f32_16x16x4f32 a[28+0:31+0], v[vgprValuB_X0_I0+6+0+0], v[vgprValuA_X0_I0+2+0+0], a[28:31]
 // Cr += Ar*Br
v_mfma_f32_16x16x4f32 a[60+0:63+0], v[vgprValuB_X0_I0+6+0+0], v51, a[60:63]
 // Ci += -Ai*Br
v_mfma_f32_16x16x4f32 a[28+0:31+0], v[vgprValuB_X0_I0+6+0+0+1], v[vgprValuA_X0_I0+2+0+0+1], a[28:31]
 // Cr += Ai*Bi
v_mfma_f32_16x16x4f32 a[60+0:63+0], v[vgprValuB_X0_I0+6+0+0+1], v[vgprValuA_X0_I0+2+0+0], a[60:63]
 // Ci += Ar*Bi


/* closeLoop loopL finalLoop=1 tailLoop=1 */
s_sub_i32 s[sgprLoopCounterL], s[sgprLoopCounterL], 0x4 // dec counterL (tailLoop)
s_add_u32 s[sgprOrigLoopCounter], s[sgprOrigLoopCounter], 0x4 // inc counterL
s_cmp_le_i32 s[sgprLoopCounterL], 0x0              // counterL<=0
s_cbranch_scc0 TailLoopBeginL_6                    // restart LoopL
TailLoopEndL_7:

SkipTailLoopL_8:

Summation_End_20:
/* endSummation: add vgpr [0...48) to pool */
.set NumFullBlocks, UNDEF
.set WgmRemainder1, UNDEF
.set MagicNumberWgmRemainder1, UNDEF

/* Mapping of Acc register -> C Vgpr register */


/* shift vector components d1 */

v_mov_b32 v1, s[sgprWorkGroup1]                    // 
v_mul_i32_i24 v1, -0x40, v1                        // wg*MT
_v_add_co_u32 v1, vcc, s[sgprSizesFree+1], v1      // wgMT = Size - wg*MT
v_mov_b32 v2, 0x40                                 // MT
v_min_u32 v1, v2, v1                               // wgMT = (wgMT < MT) ? wgMT : MT
v_lshrrev_b32 v0, 8, v[vgprSerial]                 // v0 = v[vgprSerial] / 256
v_and_b32 v3, 0, v0                                // v3 = v0 % 1
v_lshrrev_b32 v0, 4, v1                            // v0 = v1 / 16
v_and_b32 v4, 0, v0                                // v4 = v0 % 1
v_cmp_eq_u32 s[20:21], v4, v3                      // wave_id == block_belong_to_wave?
v_cndmask_b32 v1, v2, v1, s[20:21]                 // wgMT = (wgMT < MT) ? wgMT : MT

/* mbReg: which mb block need to shift, mb(matrixInstCoal(16) * VectorWidth(1)) */
v_lshrrev_b32 v2, 4, v1                            // v2 = v1 / 16
v_lshlrev_b32 v4, 0x0, v3                          // v4 = v3 * 1
_v_sub_u32 v2, v2, v4                              // 

/* gbReg: glvw block id */
v_lshrrev_b32 v4, 1, v1                            // v4 = v1 / 2

/* tgbReg: glvw block id */
v_lshrrev_b32 v0, 4, v[vgprSerial]                 // v0 = v[vgprSerial] / 16
v_and_b32 v5, 3, v0                                // v5 = v0 % 4
v_lshlrev_b32 v5, 0x2, v5                          // v5 = v5 * 4
v_lshrrev_b32 v5, 1, v5                            // v5 = v5 / 2
v_lshlrev_b32 v3, 0x3, v3                          // v3 = v3 * 8
_v_add_co_u32 v5, vcc, v3, v5                      // tgbReg = (tid_coal * continOut) / GLVW
_v_sub_u32 v4, v4, v5                              // 

/* vwReg: glvw in which vw block? */
v_and_b32 v3, 3, v1                                // permute register between threads
v_lshrrev_b32 v3, 1, v3                            // permute register between threads

/* rReg : reminder of M_size % GlobalLoadVectorWidth */
v_and_b32 v5, 1, v1                                // v5 = v1 % 2
v_cmp_eq_u32 vcc, v5, 0x1                          // wgMT%VW == 1
s_cbranch_vccnz label_0021                         // branch to shift d1 r=1
s_branch label_0034                                // no shifting

/******************************************/
/* shift d1 r=1                           */
/******************************************/
label_0021:
v_cmp_eq_u32 vcc, v2, 0x0                          // 
s_cbranch_vccnz label_0022                         // branch to shift d1 r1 mb0
v_cmp_eq_u32 vcc, v2, 0x1                          // 
s_cbranch_vccnz label_0025                         // branch to shift d1 r1 mb1
v_cmp_eq_u32 vcc, v2, 0x2                          // 
s_cbranch_vccnz label_0028                         // branch to shift d1 r1 mb2
v_cmp_eq_u32 vcc, v2, 0x3                          // 
s_cbranch_vccnz label_0031                         // branch to shift d1 r1 mb3

/******************************************/
/* shift d1 r=1 mb=0                      */
/******************************************/
label_0022: // r1 mb0 
v_cmp_eq_u32 vcc, v3, 0x0                          // 
s_cbranch_vccnz label_0023                         // branch to shift d1 r1 mb0 vw0
v_cmp_eq_u32 vcc, v3, 0x1                          // 
s_cbranch_vccnz label_0024                         // branch to shift d1 r1 mb0 vw1

/******************************************/
/* shift d1 r=1 mb=1                      */
/******************************************/
label_0025: // r1 mb1 
v_cmp_eq_u32 vcc, v3, 0x0                          // 
s_cbranch_vccnz label_0026                         // branch to shift d1 r1 mb1 vw0
v_cmp_eq_u32 vcc, v3, 0x1                          // 
s_cbranch_vccnz label_0027                         // branch to shift d1 r1 mb1 vw1

/******************************************/
/* shift d1 r=1 mb=2                      */
/******************************************/
label_0028: // r1 mb2 
v_cmp_eq_u32 vcc, v3, 0x0                          // 
s_cbranch_vccnz label_0029                         // branch to shift d1 r1 mb2 vw0
v_cmp_eq_u32 vcc, v3, 0x1                          // 
s_cbranch_vccnz label_0030                         // branch to shift d1 r1 mb2 vw1

/******************************************/
/* shift d1 r=1 mb=3                      */
/******************************************/
label_0031: // r1 mb3 
v_cmp_eq_u32 vcc, v3, 0x0                          // 
s_cbranch_vccnz label_0032                         // branch to shift d1 r1 mb3 vw0
v_cmp_eq_u32 vcc, v3, 0x1                          // 
s_cbranch_vccnz label_0033                         // branch to shift d1 r1 mb3 vw1

/******************************************/
/* shift d1 r=1 mb=0 vw0                  */
/******************************************/
label_0023: // r1 mb0 vw0 
s_mov_b32 s20, 0                                   // 
_v_cmpx_eq_u32 s[20:21], v4, s20                   // is thread in edge glvw region
v_and_b32 v0, 63, v[vgprSerial]                    // permute register between threads
v_lshlrev_b32 v0, 2, v0                            // permute register between threads
v_accvgpr_read_b32 v5, acc1                        // glvw 1 mb 0 tt1 0 r 0
s_nop 1                                            // v_accvgpr read vgpr after write vgpr: 2 wait states
v_accvgpr_write_b32 acc0, v5                       // 
v_accvgpr_read_b32 v5, acc33                       // glvw 1 mb 0 tt1 0 r 0
s_nop 1                                            // v_accvgpr read vgpr after write vgpr: 2 wait states
v_accvgpr_write_b32 acc32, v5                      // 
v_accvgpr_read_b32 v5, acc5                        // glvw 1 mb 0 tt1 1 r 0
s_nop 1                                            // v_accvgpr read vgpr after write vgpr: 2 wait states
v_accvgpr_write_b32 acc4, v5                       // 
v_accvgpr_read_b32 v5, acc37                       // glvw 1 mb 0 tt1 1 r 0
s_nop 1                                            // v_accvgpr read vgpr after write vgpr: 2 wait states
v_accvgpr_write_b32 acc36, v5                      // 
s_mov_b64 s[20:21], 0xFFFFFFFFFFFFFFFF             // to restore all threads active
s_or_saveexec_b64 vcc, s[20:21]                    // all threads active
s_branch label_0034                                // done shifting


/******************************************/
/* shift d1 r=1 mb=0 vw1                  */
/******************************************/
label_0024: // r1 mb0 vw1 
s_mov_b32 s20, 1                                   // 
_v_cmpx_eq_u32 s[20:21], v4, s20                   // is thread in edge glvw region
v_and_b32 v0, 63, v[vgprSerial]                    // permute register between threads
v_lshlrev_b32 v0, 2, v0                            // permute register between threads
v_accvgpr_read_b32 v5, acc3                        // glvw 1 mb 0 tt1 0 r 0
s_nop 1                                            // v_accvgpr read vgpr after write vgpr: 2 wait states
v_accvgpr_write_b32 acc2, v5                       // 
v_accvgpr_read_b32 v5, acc35                       // glvw 1 mb 0 tt1 0 r 0
s_nop 1                                            // v_accvgpr read vgpr after write vgpr: 2 wait states
v_accvgpr_write_b32 acc34, v5                      // 
v_accvgpr_read_b32 v5, acc7                        // glvw 1 mb 0 tt1 1 r 0
s_nop 1                                            // v_accvgpr read vgpr after write vgpr: 2 wait states
v_accvgpr_write_b32 acc6, v5                       // 
v_accvgpr_read_b32 v5, acc39                       // glvw 1 mb 0 tt1 1 r 0
s_nop 1                                            // v_accvgpr read vgpr after write vgpr: 2 wait states
v_accvgpr_write_b32 acc38, v5                      // 
s_mov_b64 s[20:21], 0xFFFFFFFFFFFFFFFF             // to restore all threads active
s_or_saveexec_b64 vcc, s[20:21]                    // all threads active
s_branch label_0034                                // done shifting


/******************************************/
/* shift d1 r=1 mb=1 vw0                  */
/******************************************/
label_0026: // r1 mb1 vw0 
s_mov_b32 s20, 8                                   // 
_v_cmpx_eq_u32 s[20:21], v4, s20                   // is thread in edge glvw region
v_and_b32 v0, 63, v[vgprSerial]                    // permute register between threads
v_lshlrev_b32 v0, 2, v0                            // permute register between threads
v_accvgpr_read_b32 v5, acc9                        // glvw 1 mb 1 tt1 0 r 0
s_nop 1                                            // v_accvgpr read vgpr after write vgpr: 2 wait states
v_accvgpr_write_b32 acc8, v5                       // 
v_accvgpr_read_b32 v5, acc41                       // glvw 1 mb 1 tt1 0 r 0
s_nop 1                                            // v_accvgpr read vgpr after write vgpr: 2 wait states
v_accvgpr_write_b32 acc40, v5                      // 
v_accvgpr_read_b32 v5, acc13                       // glvw 1 mb 1 tt1 1 r 0
s_nop 1                                            // v_accvgpr read vgpr after write vgpr: 2 wait states
v_accvgpr_write_b32 acc12, v5                      // 
v_accvgpr_read_b32 v5, acc45                       // glvw 1 mb 1 tt1 1 r 0
s_nop 1                                            // v_accvgpr read vgpr after write vgpr: 2 wait states
v_accvgpr_write_b32 acc44, v5                      // 
s_mov_b64 s[20:21], 0xFFFFFFFFFFFFFFFF             // to restore all threads active
s_or_saveexec_b64 vcc, s[20:21]                    // all threads active
s_branch label_0034                                // done shifting


/******************************************/
/* shift d1 r=1 mb=1 vw1                  */
/******************************************/
label_0027: // r1 mb1 vw1 
s_mov_b32 s20, 9                                   // 
_v_cmpx_eq_u32 s[20:21], v4, s20                   // is thread in edge glvw region
v_and_b32 v0, 63, v[vgprSerial]                    // permute register between threads
v_lshlrev_b32 v0, 2, v0                            // permute register between threads
v_accvgpr_read_b32 v5, acc11                       // glvw 1 mb 1 tt1 0 r 0
s_nop 1                                            // v_accvgpr read vgpr after write vgpr: 2 wait states
v_accvgpr_write_b32 acc10, v5                      // 
v_accvgpr_read_b32 v5, acc43                       // glvw 1 mb 1 tt1 0 r 0
s_nop 1                                            // v_accvgpr read vgpr after write vgpr: 2 wait states
v_accvgpr_write_b32 acc42, v5                      // 
v_accvgpr_read_b32 v5, acc15                       // glvw 1 mb 1 tt1 1 r 0
s_nop 1                                            // v_accvgpr read vgpr after write vgpr: 2 wait states
v_accvgpr_write_b32 acc14, v5                      // 
v_accvgpr_read_b32 v5, acc47                       // glvw 1 mb 1 tt1 1 r 0
s_nop 1                                            // v_accvgpr read vgpr after write vgpr: 2 wait states
v_accvgpr_write_b32 acc46, v5                      // 
s_mov_b64 s[20:21], 0xFFFFFFFFFFFFFFFF             // to restore all threads active
s_or_saveexec_b64 vcc, s[20:21]                    // all threads active
s_branch label_0034                                // done shifting


/******************************************/
/* shift d1 r=1 mb=2 vw0                  */
/******************************************/
label_0029: // r1 mb2 vw0 
s_mov_b32 s20, 16                                  // 
_v_cmpx_eq_u32 s[20:21], v4, s20                   // is thread in edge glvw region
v_and_b32 v0, 63, v[vgprSerial]                    // permute register between threads
v_lshlrev_b32 v0, 2, v0                            // permute register between threads
v_accvgpr_read_b32 v5, acc17                       // glvw 1 mb 2 tt1 0 r 0
s_nop 1                                            // v_accvgpr read vgpr after write vgpr: 2 wait states
v_accvgpr_write_b32 acc16, v5                      // 
v_accvgpr_read_b32 v5, acc49                       // glvw 1 mb 2 tt1 0 r 0
s_nop 1                                            // v_accvgpr read vgpr after write vgpr: 2 wait states
v_accvgpr_write_b32 acc48, v5                      // 
v_accvgpr_read_b32 v5, acc21                       // glvw 1 mb 2 tt1 1 r 0
s_nop 1                                            // v_accvgpr read vgpr after write vgpr: 2 wait states
v_accvgpr_write_b32 acc20, v5                      // 
v_accvgpr_read_b32 v5, acc53                       // glvw 1 mb 2 tt1 1 r 0
s_nop 1                                            // v_accvgpr read vgpr after write vgpr: 2 wait states
v_accvgpr_write_b32 acc52, v5                      // 
s_mov_b64 s[20:21], 0xFFFFFFFFFFFFFFFF             // to restore all threads active
s_or_saveexec_b64 vcc, s[20:21]                    // all threads active
s_branch label_0034                                // done shifting


/******************************************/
/* shift d1 r=1 mb=2 vw1                  */
/******************************************/
label_0030: // r1 mb2 vw1 
s_mov_b32 s20, 17                                  // 
_v_cmpx_eq_u32 s[20:21], v4, s20                   // is thread in edge glvw region
v_and_b32 v0, 63, v[vgprSerial]                    // permute register between threads
v_lshlrev_b32 v0, 2, v0                            // permute register between threads
v_accvgpr_read_b32 v5, acc19                       // glvw 1 mb 2 tt1 0 r 0
s_nop 1                                            // v_accvgpr read vgpr after write vgpr: 2 wait states
v_accvgpr_write_b32 acc18, v5                      // 
v_accvgpr_read_b32 v5, acc51                       // glvw 1 mb 2 tt1 0 r 0
s_nop 1                                            // v_accvgpr read vgpr after write vgpr: 2 wait states
v_accvgpr_write_b32 acc50, v5                      // 
v_accvgpr_read_b32 v5, acc23                       // glvw 1 mb 2 tt1 1 r 0
s_nop 1                                            // v_accvgpr read vgpr after write vgpr: 2 wait states
v_accvgpr_write_b32 acc22, v5                      // 
v_accvgpr_read_b32 v5, acc55                       // glvw 1 mb 2 tt1 1 r 0
s_nop 1                                            // v_accvgpr read vgpr after write vgpr: 2 wait states
v_accvgpr_write_b32 acc54, v5                      // 
s_mov_b64 s[20:21], 0xFFFFFFFFFFFFFFFF             // to restore all threads active
s_or_saveexec_b64 vcc, s[20:21]                    // all threads active
s_branch label_0034                                // done shifting


/******************************************/
/* shift d1 r=1 mb=3 vw0                  */
/******************************************/
label_0032: // r1 mb3 vw0 
s_mov_b32 s20, 24                                  // 
_v_cmpx_eq_u32 s[20:21], v4, s20                   // is thread in edge glvw region
v_and_b32 v0, 63, v[vgprSerial]                    // permute register between threads
v_lshlrev_b32 v0, 2, v0                            // permute register between threads
v_accvgpr_read_b32 v5, acc25                       // glvw 1 mb 3 tt1 0 r 0
s_nop 1                                            // v_accvgpr read vgpr after write vgpr: 2 wait states
v_accvgpr_write_b32 acc24, v5                      // 
v_accvgpr_read_b32 v5, acc57                       // glvw 1 mb 3 tt1 0 r 0
s_nop 1                                            // v_accvgpr read vgpr after write vgpr: 2 wait states
v_accvgpr_write_b32 acc56, v5                      // 
v_accvgpr_read_b32 v5, acc29                       // glvw 1 mb 3 tt1 1 r 0
s_nop 1                                            // v_accvgpr read vgpr after write vgpr: 2 wait states
v_accvgpr_write_b32 acc28, v5                      // 
v_accvgpr_read_b32 v5, acc61                       // glvw 1 mb 3 tt1 1 r 0
s_nop 1                                            // v_accvgpr read vgpr after write vgpr: 2 wait states
v_accvgpr_write_b32 acc60, v5                      // 
s_mov_b64 s[20:21], 0xFFFFFFFFFFFFFFFF             // to restore all threads active
s_or_saveexec_b64 vcc, s[20:21]                    // all threads active
s_branch label_0034                                // done shifting


/******************************************/
/* shift d1 r=1 mb=3 vw1                  */
/******************************************/
label_0033: // r1 mb3 vw1 
s_mov_b32 s20, 25                                  // 
_v_cmpx_eq_u32 s[20:21], v4, s20                   // is thread in edge glvw region
v_and_b32 v0, 63, v[vgprSerial]                    // permute register between threads
v_lshlrev_b32 v0, 2, v0                            // permute register between threads
v_accvgpr_read_b32 v5, acc27                       // glvw 1 mb 3 tt1 0 r 0
s_nop 1                                            // v_accvgpr read vgpr after write vgpr: 2 wait states
v_accvgpr_write_b32 acc26, v5                      // 
v_accvgpr_read_b32 v5, acc59                       // glvw 1 mb 3 tt1 0 r 0
s_nop 1                                            // v_accvgpr read vgpr after write vgpr: 2 wait states
v_accvgpr_write_b32 acc58, v5                      // 
v_accvgpr_read_b32 v5, acc31                       // glvw 1 mb 3 tt1 1 r 0
s_nop 1                                            // v_accvgpr read vgpr after write vgpr: 2 wait states
v_accvgpr_write_b32 acc30, v5                      // 
v_accvgpr_read_b32 v5, acc63                       // glvw 1 mb 3 tt1 1 r 0
s_nop 1                                            // v_accvgpr read vgpr after write vgpr: 2 wait states
v_accvgpr_write_b32 acc62, v5                      // 
s_mov_b64 s[20:21], 0xFFFFFFFFFFFFFFFF             // to restore all threads active
s_or_saveexec_b64 vcc, s[20:21]                    // all threads active
s_branch label_0034                                // done shifting

label_0034: // end shift0


	;; [unrolled: 1-line block ×3, first 2 shown]
/* not-LocalSplitU: global write indices */

/* computeStoreVgprs */
v_lshrrev_b32 v2, 6, v[vgprSerial]                 // v2 = v[vgprSerial] / 64
v_and_b32 v1, 63, v[vgprSerial]                    // v1 = v[vgprSerial] % 64
v_lshrrev_b32 v1, 4, v1                            // v1 = v1 / 16
v_lshlrev_b32 v1, 0x2, v1                          // thread0 * continuous_output
v_lshrrev_b32 v3, 2, v2                            // v3 = v2 / 4
v_mul_lo_u32 v3, 0x10, v3                          // wave coordination offset 1
_v_add_lshl_u32 v1, v3, v1, 0                      // coordination 1 = vwb *(wave_id1 + tid1)
v_and_b32 v3, 3, v2                                // v3 = v2 % 4
v_mul_lo_u32 v3, 0x10, v3                          // wave coordination offset 0
v_and_b32 v0, 15, v[vgprSerial]                    // v0 = v[vgprSerial] % 16
_v_add_lshl_u32 v0, v3, v0, 1                      // coordination 0 = vwa *(wave_id0 + tid0)
s_mul_i32 s7, 128, s[sgprWorkGroup0]               // wgp0 * MT0
_v_add_u32 v0, s7, v0                              // coord 0 = (tid0/MI_m)*4 + waveG0*MIB_m + MT0*SG0
s_mul_i32 s7, 64, s[sgprWorkGroup1]                // wgp1 * MT1
_v_add_u32 v1, s7, v1                              // coord 1 = (tid0%MI_m) + waveG1*MIB_n + MT1*SG1
v_mov_b32 v2, s[sgprAddressD+0]                    // sgpr -> vgpr
v_mov_b32 v3, s[sgprAddressD+1]                    // sgpr -> vgpr
v_mov_b32 v4, s[sgprAddressC+0]                    // sgpr -> vgpr
v_mov_b32 v5, s[sgprAddressC+1]                    // sgpr -> vgpr


/* not-LocalSplitU: global write */

s_mov_b32 s7, s[sgprBeta+0]                        // tmp = Beta[0]
s_or_b32 s7, s[sgprBeta+1], s7                     // tmp |= Beta[1] 
s_cmpk_eq_u32 s7, 0x0                              // Beta == 0
s_cbranch_scc0 GW_Beta_61                          // Branch if Beta is not zero

s_and_b32 s20, 127, s[sgprSizeI]                   // s20 = s[sgprSizeI] % 128
s_add_u32 s21, -0x1, s[sgprNumWorkGroups0]         // 
s_cmp_ge_u32 s[sgprWorkGroup0], s21                // wg0 >= nwg0-1 ?
s_cselect_b32 s20, s20, 0                          // set rMT0
s_cmpk_gt_u32 s20, 0x0                             // rMT0 > 0
s_cbranch_scc1 GW_B0_E1_52                         // jump if edges required
s_and_b32 s20, 63, s[sgprSizeJ]                    // s20 = s[sgprSizeJ] % 64
s_add_u32 s21, -0x1, s[sgprNumWorkGroups1]         // 
s_cmp_ge_u32 s[sgprWorkGroup1], s21                // wg1 >= nwg1-1
s_cselect_b32 s20, s20, 0                          // set rMT1
s_cmpk_gt_u32 s20, 0x0                             // rMT1 > 0
s_cbranch_scc1 GW_B0_E1_52                         // jump if edges required
GW_B0_E0_49:

/* edge=0, allocate 8 sgpr. perBatchTmpS=4 perBatchMaskS=0 perElementMaskS=2 elementsPerBatch=2 */
/* optSingleColVgpr=0 optSharedColVgpr=0 optSGPRUsage=None optSrdIncForRow=0 */

/******************************************/
/* Global Write Alpha Batch #0 (d1,d0,vc1,vc0) = */
/*    (0,0,0,0:vw2); (0,0,1,0:vw2)        */
/******************************************/

/* calc coords, apply mask, and issue loads (if necessary) */
/* (d1,vc1,d0,vc0)=(0,0,0,0) */
GLOBAL_OFFSET_D 12, 0, 1, 8
v_mov_b32 v8, v12                                  // temp store offset 0
v_mov_b32 v9, v13                                  // temp store offset 1
_v_add_co_u32 v12, vcc, v2, v8                     // addrVgpr = D + index*bytes (lo)
_v_addc_co_u32 v13, vcc, v3, v9, vcc               // addrVgpr = D + index*bytes (hi)
/* (d1,vc1,d0,vc0)=(0,1,0,0) */
_v_add_co_u32 v1, vcc, v1, 1                       // coord1.1: coord1Vgpr += d1*sg1*VW + vc1
GLOBAL_OFFSET_D 14, 0, 1, 8
v_mov_b32 v8, v14                                  // temp store offset 0
v_mov_b32 v9, v15                                  // temp store offset 1
_v_add_co_u32 v14, vcc, v2, v8                     // addrVgpr = D + index*bytes (lo)
_v_addc_co_u32 v15, vcc, v3, v9, vcc               // addrVgpr = D + index*bytes (hi)
v_accvgpr_read_b32 v[vgprValuC+16], acc0 // copy acc to vreg[0]
v_accvgpr_read_b32 v[vgprValuC+17], acc32 // copy acc to vreg[1]
v_accvgpr_read_b32 v[vgprValuC+18], acc4 // copy acc to vreg[2]
v_accvgpr_read_b32 v[vgprValuC+19], acc36 // copy acc to vreg[3]
v_accvgpr_read_b32 v[vgprValuC+20], acc1 // copy acc to vreg[4]
v_accvgpr_read_b32 v[vgprValuC+21], acc33 // copy acc to vreg[5]
v_accvgpr_read_b32 v[vgprValuC+22], acc5 // copy acc to vreg[6]
v_accvgpr_read_b32 v[vgprValuC+23], acc37 // copy acc to vreg[7]
s_nop 1                                            // 2 wait states required before reading vgpr

/* rC *= alpha batchElements=[(0, 0, 0, 0), (0, 0, 1, 0)] */
v_mov_b32 v11, v[vgprValuC+16]                     // store Cr
v_mul_f32 v[vgprValuC+16], s[sgprAlpha], v[vgprValuC+16] // *= alpha ( Cr = Ar * Cr)
_v_mac_f32 v[vgprValuC+16], -s[sgprAlpha+1], v[vgprValuC+17] // *= alpha ( Cr += -Ai * Ci )
v_mul_f32 v[vgprValuC+17], s[sgprAlpha], v[vgprValuC+17] // *= alpha ( Ci = Ar * Ci)
_v_mac_f32 v[vgprValuC+17], s[sgprAlpha+1], v11    // *= alpha ( Ci += Ai * Cr_backup )
v_mov_b32 v11, v[vgprValuC+18]                     // store Cr
v_mul_f32 v[vgprValuC+18], s[sgprAlpha], v[vgprValuC+18] // *= alpha ( Cr = Ar * Cr)
_v_mac_f32 v[vgprValuC+18], -s[sgprAlpha+1], v[vgprValuC+19] // *= alpha ( Cr += -Ai * Ci )
v_mul_f32 v[vgprValuC+19], s[sgprAlpha], v[vgprValuC+19] // *= alpha ( Ci = Ar * Ci)
_v_mac_f32 v[vgprValuC+19], s[sgprAlpha+1], v11    // *= alpha ( Ci += Ai * Cr_backup )
	;; [unrolled: 5-line block ×4, first 2 shown]

/* apply mask, calc new C and issue writes */
_global_store_b128 v[12:13], v[16:19], off         // store D
_global_store_b128 v[14:15], v[20:23], off         // store D
s_nop 0                                            // 1 wait state required when next inst writes vgprs held by previous dwordx4 store inst
/* optSingleColVgpr=0 optSharedColVgpr=0 optSGPRUsage=None optSrdIncForRow=0 */

/******************************************/
/* Global Write Alpha Batch #1 (d1,d0,vc1,vc0) = */
/*    (0,0,2,0:vw2); (0,0,3,0:vw2)        */
/******************************************/

/* calc coords, apply mask, and issue loads (if necessary) */
/* (d1,vc1,d0,vc0)=(0,2,0,0) */
_v_add_co_u32 v1, vcc, v1, 1                       // coord1.1: coord1Vgpr += d1*sg1*VW + vc1
GLOBAL_OFFSET_D 12, 0, 1, 8
v_mov_b32 v8, v12                                  // temp store offset 0
v_mov_b32 v9, v13                                  // temp store offset 1
_v_add_co_u32 v12, vcc, v2, v8                     // addrVgpr = D + index*bytes (lo)
_v_addc_co_u32 v13, vcc, v3, v9, vcc               // addrVgpr = D + index*bytes (hi)
/* (d1,vc1,d0,vc0)=(0,3,0,0) */
_v_add_co_u32 v1, vcc, v1, 1                       // coord1.1: coord1Vgpr += d1*sg1*VW + vc1
GLOBAL_OFFSET_D 14, 0, 1, 8
v_mov_b32 v8, v14                                  // temp store offset 0
v_mov_b32 v9, v15                                  // temp store offset 1
_v_add_co_u32 v14, vcc, v2, v8                     // addrVgpr = D + index*bytes (lo)
_v_addc_co_u32 v15, vcc, v3, v9, vcc               // addrVgpr = D + index*bytes (hi)
v_accvgpr_read_b32 v[vgprValuC+16], acc2 // copy acc to vreg[8]
v_accvgpr_read_b32 v[vgprValuC+17], acc34 // copy acc to vreg[9]
v_accvgpr_read_b32 v[vgprValuC+18], acc6 // copy acc to vreg[10]
v_accvgpr_read_b32 v[vgprValuC+19], acc38 // copy acc to vreg[11]
v_accvgpr_read_b32 v[vgprValuC+20], acc3 // copy acc to vreg[12]
v_accvgpr_read_b32 v[vgprValuC+21], acc35 // copy acc to vreg[13]
v_accvgpr_read_b32 v[vgprValuC+22], acc7 // copy acc to vreg[14]
v_accvgpr_read_b32 v[vgprValuC+23], acc39 // copy acc to vreg[15]
s_nop 1                                            // 2 wait states required before reading vgpr

/* rC *= alpha batchElements=[(0, 0, 2, 0), (0, 0, 3, 0)] */
v_mov_b32 v11, v[vgprValuC+16]                     // store Cr
v_mul_f32 v[vgprValuC+16], s[sgprAlpha], v[vgprValuC+16] // *= alpha ( Cr = Ar * Cr)
_v_mac_f32 v[vgprValuC+16], -s[sgprAlpha+1], v[vgprValuC+17] // *= alpha ( Cr += -Ai * Ci )
v_mul_f32 v[vgprValuC+17], s[sgprAlpha], v[vgprValuC+17] // *= alpha ( Ci = Ar * Ci)
_v_mac_f32 v[vgprValuC+17], s[sgprAlpha+1], v11    // *= alpha ( Ci += Ai * Cr_backup )
v_mov_b32 v11, v[vgprValuC+18]                     // store Cr
v_mul_f32 v[vgprValuC+18], s[sgprAlpha], v[vgprValuC+18] // *= alpha ( Cr = Ar * Cr)
_v_mac_f32 v[vgprValuC+18], -s[sgprAlpha+1], v[vgprValuC+19] // *= alpha ( Cr += -Ai * Ci )
v_mul_f32 v[vgprValuC+19], s[sgprAlpha], v[vgprValuC+19] // *= alpha ( Ci = Ar * Ci)
_v_mac_f32 v[vgprValuC+19], s[sgprAlpha+1], v11    // *= alpha ( Ci += Ai * Cr_backup )
v_mov_b32 v11, v[vgprValuC+20]                     // store Cr
v_mul_f32 v[vgprValuC+20], s[sgprAlpha], v[vgprValuC+20] // *= alpha ( Cr = Ar * Cr)
_v_mac_f32 v[vgprValuC+20], -s[sgprAlpha+1], v[vgprValuC+21] // *= alpha ( Cr += -Ai * Ci )
v_mul_f32 v[vgprValuC+21], s[sgprAlpha], v[vgprValuC+21] // *= alpha ( Ci = Ar * Ci)
_v_mac_f32 v[vgprValuC+21], s[sgprAlpha+1], v11    // *= alpha ( Ci += Ai * Cr_backup )
v_mov_b32 v11, v[vgprValuC+22]                     // store Cr
v_mul_f32 v[vgprValuC+22], s[sgprAlpha], v[vgprValuC+22] // *= alpha ( Cr = Ar * Cr)
_v_mac_f32 v[vgprValuC+22], -s[sgprAlpha+1], v[vgprValuC+23] // *= alpha ( Cr += -Ai * Ci )
v_mul_f32 v[vgprValuC+23], s[sgprAlpha], v[vgprValuC+23] // *= alpha ( Ci = Ar * Ci)
_v_mac_f32 v[vgprValuC+23], s[sgprAlpha+1], v11    // *= alpha ( Ci += Ai * Cr_backup )

/* apply mask, calc new C and issue writes */
_global_store_b128 v[12:13], v[16:19], off         // store D
_global_store_b128 v[14:15], v[20:23], off         // store D
s_nop 0                                            // 1 wait state required when next inst writes vgprs held by previous dwordx4 store inst
/* optSingleColVgpr=0 optSharedColVgpr=0 optSGPRUsage=None optSrdIncForRow=0 */

/******************************************/
/* Global Write Alpha Batch #2 (d1,d0,vc1,vc0) = */
/*    (1,0,0,0:vw2); (1,0,1,0:vw2)        */
/******************************************/

/* calc coords, apply mask, and issue loads (if necessary) */
/* (d1,vc1,d0,vc0)=(1,0,0,0) */
_v_add_co_u32 v1, vcc, v1, 13                      // coord1.1: coord1Vgpr += d1*sg1*VW + vc1
GLOBAL_OFFSET_D 12, 0, 1, 8
v_mov_b32 v8, v12                                  // temp store offset 0
v_mov_b32 v9, v13                                  // temp store offset 1
_v_add_co_u32 v12, vcc, v2, v8                     // addrVgpr = D + index*bytes (lo)
_v_addc_co_u32 v13, vcc, v3, v9, vcc               // addrVgpr = D + index*bytes (hi)
/* (d1,vc1,d0,vc0)=(1,1,0,0) */
_v_add_co_u32 v1, vcc, v1, 1                       // coord1.1: coord1Vgpr += d1*sg1*VW + vc1
GLOBAL_OFFSET_D 14, 0, 1, 8
v_mov_b32 v8, v14                                  // temp store offset 0
v_mov_b32 v9, v15                                  // temp store offset 1
_v_add_co_u32 v14, vcc, v2, v8                     // addrVgpr = D + index*bytes (lo)
_v_addc_co_u32 v15, vcc, v3, v9, vcc               // addrVgpr = D + index*bytes (hi)
v_accvgpr_read_b32 v[vgprValuC+16], acc8 // copy acc to vreg[16]
v_accvgpr_read_b32 v[vgprValuC+17], acc40 // copy acc to vreg[17]
v_accvgpr_read_b32 v[vgprValuC+18], acc12 // copy acc to vreg[18]
v_accvgpr_read_b32 v[vgprValuC+19], acc44 // copy acc to vreg[19]
v_accvgpr_read_b32 v[vgprValuC+20], acc9 // copy acc to vreg[20]
v_accvgpr_read_b32 v[vgprValuC+21], acc41 // copy acc to vreg[21]
v_accvgpr_read_b32 v[vgprValuC+22], acc13 // copy acc to vreg[22]
v_accvgpr_read_b32 v[vgprValuC+23], acc45 // copy acc to vreg[23]
s_nop 1                                            // 2 wait states required before reading vgpr

/* rC *= alpha batchElements=[(1, 0, 0, 0), (1, 0, 1, 0)] */
v_mov_b32 v11, v[vgprValuC+16]                     // store Cr
v_mul_f32 v[vgprValuC+16], s[sgprAlpha], v[vgprValuC+16] // *= alpha ( Cr = Ar * Cr)
_v_mac_f32 v[vgprValuC+16], -s[sgprAlpha+1], v[vgprValuC+17] // *= alpha ( Cr += -Ai * Ci )
v_mul_f32 v[vgprValuC+17], s[sgprAlpha], v[vgprValuC+17] // *= alpha ( Ci = Ar * Ci)
_v_mac_f32 v[vgprValuC+17], s[sgprAlpha+1], v11    // *= alpha ( Ci += Ai * Cr_backup )
v_mov_b32 v11, v[vgprValuC+18]                     // store Cr
v_mul_f32 v[vgprValuC+18], s[sgprAlpha], v[vgprValuC+18] // *= alpha ( Cr = Ar * Cr)
_v_mac_f32 v[vgprValuC+18], -s[sgprAlpha+1], v[vgprValuC+19] // *= alpha ( Cr += -Ai * Ci )
v_mul_f32 v[vgprValuC+19], s[sgprAlpha], v[vgprValuC+19] // *= alpha ( Ci = Ar * Ci)
_v_mac_f32 v[vgprValuC+19], s[sgprAlpha+1], v11    // *= alpha ( Ci += Ai * Cr_backup )
	;; [unrolled: 5-line block ×4, first 2 shown]

/* apply mask, calc new C and issue writes */
_global_store_b128 v[12:13], v[16:19], off         // store D
_global_store_b128 v[14:15], v[20:23], off         // store D
s_nop 0                                            // 1 wait state required when next inst writes vgprs held by previous dwordx4 store inst
/* optSingleColVgpr=0 optSharedColVgpr=0 optSGPRUsage=None optSrdIncForRow=0 */

/******************************************/
/* Global Write Alpha Batch #3 (d1,d0,vc1,vc0) = */
/*    (1,0,2,0:vw2); (1,0,3,0:vw2)        */
/******************************************/

/* calc coords, apply mask, and issue loads (if necessary) */
/* (d1,vc1,d0,vc0)=(1,2,0,0) */
_v_add_co_u32 v1, vcc, v1, 1                       // coord1.1: coord1Vgpr += d1*sg1*VW + vc1
GLOBAL_OFFSET_D 12, 0, 1, 8
v_mov_b32 v8, v12                                  // temp store offset 0
v_mov_b32 v9, v13                                  // temp store offset 1
_v_add_co_u32 v12, vcc, v2, v8                     // addrVgpr = D + index*bytes (lo)
_v_addc_co_u32 v13, vcc, v3, v9, vcc               // addrVgpr = D + index*bytes (hi)
/* (d1,vc1,d0,vc0)=(1,3,0,0) */
_v_add_co_u32 v1, vcc, v1, 1                       // coord1.1: coord1Vgpr += d1*sg1*VW + vc1
GLOBAL_OFFSET_D 14, 0, 1, 8
v_mov_b32 v8, v14                                  // temp store offset 0
v_mov_b32 v9, v15                                  // temp store offset 1
_v_add_co_u32 v14, vcc, v2, v8                     // addrVgpr = D + index*bytes (lo)
_v_addc_co_u32 v15, vcc, v3, v9, vcc               // addrVgpr = D + index*bytes (hi)
v_accvgpr_read_b32 v[vgprValuC+16], acc10 // copy acc to vreg[24]
v_accvgpr_read_b32 v[vgprValuC+17], acc42 // copy acc to vreg[25]
v_accvgpr_read_b32 v[vgprValuC+18], acc14 // copy acc to vreg[26]
v_accvgpr_read_b32 v[vgprValuC+19], acc46 // copy acc to vreg[27]
v_accvgpr_read_b32 v[vgprValuC+20], acc11 // copy acc to vreg[28]
v_accvgpr_read_b32 v[vgprValuC+21], acc43 // copy acc to vreg[29]
v_accvgpr_read_b32 v[vgprValuC+22], acc15 // copy acc to vreg[30]
v_accvgpr_read_b32 v[vgprValuC+23], acc47 // copy acc to vreg[31]
s_nop 1                                            // 2 wait states required before reading vgpr

/* rC *= alpha batchElements=[(1, 0, 2, 0), (1, 0, 3, 0)] */
v_mov_b32 v11, v[vgprValuC+16]                     // store Cr
v_mul_f32 v[vgprValuC+16], s[sgprAlpha], v[vgprValuC+16] // *= alpha ( Cr = Ar * Cr)
_v_mac_f32 v[vgprValuC+16], -s[sgprAlpha+1], v[vgprValuC+17] // *= alpha ( Cr += -Ai * Ci )
v_mul_f32 v[vgprValuC+17], s[sgprAlpha], v[vgprValuC+17] // *= alpha ( Ci = Ar * Ci)
_v_mac_f32 v[vgprValuC+17], s[sgprAlpha+1], v11    // *= alpha ( Ci += Ai * Cr_backup )
v_mov_b32 v11, v[vgprValuC+18]                     // store Cr
v_mul_f32 v[vgprValuC+18], s[sgprAlpha], v[vgprValuC+18] // *= alpha ( Cr = Ar * Cr)
_v_mac_f32 v[vgprValuC+18], -s[sgprAlpha+1], v[vgprValuC+19] // *= alpha ( Cr += -Ai * Ci )
v_mul_f32 v[vgprValuC+19], s[sgprAlpha], v[vgprValuC+19] // *= alpha ( Ci = Ar * Ci)
_v_mac_f32 v[vgprValuC+19], s[sgprAlpha+1], v11    // *= alpha ( Ci += Ai * Cr_backup )
	;; [unrolled: 5-line block ×4, first 2 shown]

/* apply mask, calc new C and issue writes */
_global_store_b128 v[12:13], v[16:19], off         // store D
_global_store_b128 v[14:15], v[20:23], off         // store D
s_nop 0                                            // 1 wait state required when next inst writes vgprs held by previous dwordx4 store inst
/* optSingleColVgpr=0 optSharedColVgpr=0 optSGPRUsage=None optSrdIncForRow=0 */

/******************************************/
/* Global Write Alpha Batch #4 (d1,d0,vc1,vc0) = */
/*    (2,0,0,0:vw2); (2,0,1,0:vw2)        */
/******************************************/

/* calc coords, apply mask, and issue loads (if necessary) */
/* (d1,vc1,d0,vc0)=(2,0,0,0) */
_v_add_co_u32 v1, vcc, v1, 13                      // coord1.1: coord1Vgpr += d1*sg1*VW + vc1
GLOBAL_OFFSET_D 12, 0, 1, 8
v_mov_b32 v8, v12                                  // temp store offset 0
v_mov_b32 v9, v13                                  // temp store offset 1
_v_add_co_u32 v12, vcc, v2, v8                     // addrVgpr = D + index*bytes (lo)
_v_addc_co_u32 v13, vcc, v3, v9, vcc               // addrVgpr = D + index*bytes (hi)
/* (d1,vc1,d0,vc0)=(2,1,0,0) */
_v_add_co_u32 v1, vcc, v1, 1                       // coord1.1: coord1Vgpr += d1*sg1*VW + vc1
GLOBAL_OFFSET_D 14, 0, 1, 8
v_mov_b32 v8, v14                                  // temp store offset 0
v_mov_b32 v9, v15                                  // temp store offset 1
_v_add_co_u32 v14, vcc, v2, v8                     // addrVgpr = D + index*bytes (lo)
_v_addc_co_u32 v15, vcc, v3, v9, vcc               // addrVgpr = D + index*bytes (hi)
v_accvgpr_read_b32 v[vgprValuC+16], acc16 // copy acc to vreg[32]
v_accvgpr_read_b32 v[vgprValuC+17], acc48 // copy acc to vreg[33]
v_accvgpr_read_b32 v[vgprValuC+18], acc20 // copy acc to vreg[34]
v_accvgpr_read_b32 v[vgprValuC+19], acc52 // copy acc to vreg[35]
v_accvgpr_read_b32 v[vgprValuC+20], acc17 // copy acc to vreg[36]
v_accvgpr_read_b32 v[vgprValuC+21], acc49 // copy acc to vreg[37]
v_accvgpr_read_b32 v[vgprValuC+22], acc21 // copy acc to vreg[38]
v_accvgpr_read_b32 v[vgprValuC+23], acc53 // copy acc to vreg[39]
s_nop 1                                            // 2 wait states required before reading vgpr

/* rC *= alpha batchElements=[(2, 0, 0, 0), (2, 0, 1, 0)] */
v_mov_b32 v11, v[vgprValuC+16]                     // store Cr
v_mul_f32 v[vgprValuC+16], s[sgprAlpha], v[vgprValuC+16] // *= alpha ( Cr = Ar * Cr)
_v_mac_f32 v[vgprValuC+16], -s[sgprAlpha+1], v[vgprValuC+17] // *= alpha ( Cr += -Ai * Ci )
v_mul_f32 v[vgprValuC+17], s[sgprAlpha], v[vgprValuC+17] // *= alpha ( Ci = Ar * Ci)
_v_mac_f32 v[vgprValuC+17], s[sgprAlpha+1], v11    // *= alpha ( Ci += Ai * Cr_backup )
v_mov_b32 v11, v[vgprValuC+18]                     // store Cr
v_mul_f32 v[vgprValuC+18], s[sgprAlpha], v[vgprValuC+18] // *= alpha ( Cr = Ar * Cr)
_v_mac_f32 v[vgprValuC+18], -s[sgprAlpha+1], v[vgprValuC+19] // *= alpha ( Cr += -Ai * Ci )
v_mul_f32 v[vgprValuC+19], s[sgprAlpha], v[vgprValuC+19] // *= alpha ( Ci = Ar * Ci)
_v_mac_f32 v[vgprValuC+19], s[sgprAlpha+1], v11    // *= alpha ( Ci += Ai * Cr_backup )
	;; [unrolled: 5-line block ×4, first 2 shown]

/* apply mask, calc new C and issue writes */
_global_store_b128 v[12:13], v[16:19], off         // store D
_global_store_b128 v[14:15], v[20:23], off         // store D
s_nop 0                                            // 1 wait state required when next inst writes vgprs held by previous dwordx4 store inst
/* optSingleColVgpr=0 optSharedColVgpr=0 optSGPRUsage=None optSrdIncForRow=0 */

/******************************************/
/* Global Write Alpha Batch #5 (d1,d0,vc1,vc0) = */
/*    (2,0,2,0:vw2); (2,0,3,0:vw2)        */
/******************************************/

/* calc coords, apply mask, and issue loads (if necessary) */
/* (d1,vc1,d0,vc0)=(2,2,0,0) */
_v_add_co_u32 v1, vcc, v1, 1                       // coord1.1: coord1Vgpr += d1*sg1*VW + vc1
GLOBAL_OFFSET_D 12, 0, 1, 8
v_mov_b32 v8, v12                                  // temp store offset 0
v_mov_b32 v9, v13                                  // temp store offset 1
_v_add_co_u32 v12, vcc, v2, v8                     // addrVgpr = D + index*bytes (lo)
_v_addc_co_u32 v13, vcc, v3, v9, vcc               // addrVgpr = D + index*bytes (hi)
/* (d1,vc1,d0,vc0)=(2,3,0,0) */
_v_add_co_u32 v1, vcc, v1, 1                       // coord1.1: coord1Vgpr += d1*sg1*VW + vc1
GLOBAL_OFFSET_D 14, 0, 1, 8
v_mov_b32 v8, v14                                  // temp store offset 0
v_mov_b32 v9, v15                                  // temp store offset 1
_v_add_co_u32 v14, vcc, v2, v8                     // addrVgpr = D + index*bytes (lo)
_v_addc_co_u32 v15, vcc, v3, v9, vcc               // addrVgpr = D + index*bytes (hi)
v_accvgpr_read_b32 v[vgprValuC+16], acc18 // copy acc to vreg[40]
v_accvgpr_read_b32 v[vgprValuC+17], acc50 // copy acc to vreg[41]
v_accvgpr_read_b32 v[vgprValuC+18], acc22 // copy acc to vreg[42]
v_accvgpr_read_b32 v[vgprValuC+19], acc54 // copy acc to vreg[43]
v_accvgpr_read_b32 v[vgprValuC+20], acc19 // copy acc to vreg[44]
v_accvgpr_read_b32 v[vgprValuC+21], acc51 // copy acc to vreg[45]
v_accvgpr_read_b32 v[vgprValuC+22], acc23 // copy acc to vreg[46]
v_accvgpr_read_b32 v[vgprValuC+23], acc55 // copy acc to vreg[47]
s_nop 1                                            // 2 wait states required before reading vgpr

/* rC *= alpha batchElements=[(2, 0, 2, 0), (2, 0, 3, 0)] */
v_mov_b32 v11, v[vgprValuC+16]                     // store Cr
v_mul_f32 v[vgprValuC+16], s[sgprAlpha], v[vgprValuC+16] // *= alpha ( Cr = Ar * Cr)
_v_mac_f32 v[vgprValuC+16], -s[sgprAlpha+1], v[vgprValuC+17] // *= alpha ( Cr += -Ai * Ci )
v_mul_f32 v[vgprValuC+17], s[sgprAlpha], v[vgprValuC+17] // *= alpha ( Ci = Ar * Ci)
_v_mac_f32 v[vgprValuC+17], s[sgprAlpha+1], v11    // *= alpha ( Ci += Ai * Cr_backup )
v_mov_b32 v11, v[vgprValuC+18]                     // store Cr
v_mul_f32 v[vgprValuC+18], s[sgprAlpha], v[vgprValuC+18] // *= alpha ( Cr = Ar * Cr)
_v_mac_f32 v[vgprValuC+18], -s[sgprAlpha+1], v[vgprValuC+19] // *= alpha ( Cr += -Ai * Ci )
v_mul_f32 v[vgprValuC+19], s[sgprAlpha], v[vgprValuC+19] // *= alpha ( Ci = Ar * Ci)
_v_mac_f32 v[vgprValuC+19], s[sgprAlpha+1], v11    // *= alpha ( Ci += Ai * Cr_backup )
	;; [unrolled: 5-line block ×4, first 2 shown]

/* apply mask, calc new C and issue writes */
_global_store_b128 v[12:13], v[16:19], off         // store D
_global_store_b128 v[14:15], v[20:23], off         // store D
s_nop 0                                            // 1 wait state required when next inst writes vgprs held by previous dwordx4 store inst
/* optSingleColVgpr=0 optSharedColVgpr=0 optSGPRUsage=None optSrdIncForRow=0 */

/******************************************/
/* Global Write Alpha Batch #6 (d1,d0,vc1,vc0) = */
/*    (3,0,0,0:vw2); (3,0,1,0:vw2)        */
/******************************************/

/* calc coords, apply mask, and issue loads (if necessary) */
/* (d1,vc1,d0,vc0)=(3,0,0,0) */
_v_add_co_u32 v1, vcc, v1, 13                      // coord1.1: coord1Vgpr += d1*sg1*VW + vc1
GLOBAL_OFFSET_D 12, 0, 1, 8
v_mov_b32 v8, v12                                  // temp store offset 0
v_mov_b32 v9, v13                                  // temp store offset 1
_v_add_co_u32 v12, vcc, v2, v8                     // addrVgpr = D + index*bytes (lo)
_v_addc_co_u32 v13, vcc, v3, v9, vcc               // addrVgpr = D + index*bytes (hi)
/* (d1,vc1,d0,vc0)=(3,1,0,0) */
_v_add_co_u32 v1, vcc, v1, 1                       // coord1.1: coord1Vgpr += d1*sg1*VW + vc1
GLOBAL_OFFSET_D 14, 0, 1, 8
v_mov_b32 v8, v14                                  // temp store offset 0
v_mov_b32 v9, v15                                  // temp store offset 1
_v_add_co_u32 v14, vcc, v2, v8                     // addrVgpr = D + index*bytes (lo)
_v_addc_co_u32 v15, vcc, v3, v9, vcc               // addrVgpr = D + index*bytes (hi)
v_accvgpr_read_b32 v[vgprValuC+16], acc24 // copy acc to vreg[48]
v_accvgpr_read_b32 v[vgprValuC+17], acc56 // copy acc to vreg[49]
v_accvgpr_read_b32 v[vgprValuC+18], acc28 // copy acc to vreg[50]
v_accvgpr_read_b32 v[vgprValuC+19], acc60 // copy acc to vreg[51]
v_accvgpr_read_b32 v[vgprValuC+20], acc25 // copy acc to vreg[52]
v_accvgpr_read_b32 v[vgprValuC+21], acc57 // copy acc to vreg[53]
v_accvgpr_read_b32 v[vgprValuC+22], acc29 // copy acc to vreg[54]
v_accvgpr_read_b32 v[vgprValuC+23], acc61 // copy acc to vreg[55]
s_nop 1                                            // 2 wait states required before reading vgpr

/* rC *= alpha batchElements=[(3, 0, 0, 0), (3, 0, 1, 0)] */
v_mov_b32 v11, v[vgprValuC+16]                     // store Cr
v_mul_f32 v[vgprValuC+16], s[sgprAlpha], v[vgprValuC+16] // *= alpha ( Cr = Ar * Cr)
_v_mac_f32 v[vgprValuC+16], -s[sgprAlpha+1], v[vgprValuC+17] // *= alpha ( Cr += -Ai * Ci )
v_mul_f32 v[vgprValuC+17], s[sgprAlpha], v[vgprValuC+17] // *= alpha ( Ci = Ar * Ci)
_v_mac_f32 v[vgprValuC+17], s[sgprAlpha+1], v11    // *= alpha ( Ci += Ai * Cr_backup )
v_mov_b32 v11, v[vgprValuC+18]                     // store Cr
v_mul_f32 v[vgprValuC+18], s[sgprAlpha], v[vgprValuC+18] // *= alpha ( Cr = Ar * Cr)
_v_mac_f32 v[vgprValuC+18], -s[sgprAlpha+1], v[vgprValuC+19] // *= alpha ( Cr += -Ai * Ci )
v_mul_f32 v[vgprValuC+19], s[sgprAlpha], v[vgprValuC+19] // *= alpha ( Ci = Ar * Ci)
_v_mac_f32 v[vgprValuC+19], s[sgprAlpha+1], v11    // *= alpha ( Ci += Ai * Cr_backup )
v_mov_b32 v11, v[vgprValuC+20]                     // store Cr
v_mul_f32 v[vgprValuC+20], s[sgprAlpha], v[vgprValuC+20] // *= alpha ( Cr = Ar * Cr)
_v_mac_f32 v[vgprValuC+20], -s[sgprAlpha+1], v[vgprValuC+21] // *= alpha ( Cr += -Ai * Ci )
v_mul_f32 v[vgprValuC+21], s[sgprAlpha], v[vgprValuC+21] // *= alpha ( Ci = Ar * Ci)
_v_mac_f32 v[vgprValuC+21], s[sgprAlpha+1], v11    // *= alpha ( Ci += Ai * Cr_backup )
v_mov_b32 v11, v[vgprValuC+22]                     // store Cr
v_mul_f32 v[vgprValuC+22], s[sgprAlpha], v[vgprValuC+22] // *= alpha ( Cr = Ar * Cr)
_v_mac_f32 v[vgprValuC+22], -s[sgprAlpha+1], v[vgprValuC+23] // *= alpha ( Cr += -Ai * Ci )
v_mul_f32 v[vgprValuC+23], s[sgprAlpha], v[vgprValuC+23] // *= alpha ( Ci = Ar * Ci)
_v_mac_f32 v[vgprValuC+23], s[sgprAlpha+1], v11    // *= alpha ( Ci += Ai * Cr_backup )

/* apply mask, calc new C and issue writes */
_global_store_b128 v[12:13], v[16:19], off         // store D
_global_store_b128 v[14:15], v[20:23], off         // store D
s_nop 0                                            // 1 wait state required when next inst writes vgprs held by previous dwordx4 store inst
/* optSingleColVgpr=0 optSharedColVgpr=0 optSGPRUsage=None optSrdIncForRow=0 */

/******************************************/
/* Global Write Alpha Batch #7 (d1,d0,vc1,vc0) = */
/*    (3,0,2,0:vw2); (3,0,3,0:vw2)        */
/******************************************/

/* calc coords, apply mask, and issue loads (if necessary) */
/* (d1,vc1,d0,vc0)=(3,2,0,0) */
_v_add_co_u32 v1, vcc, v1, 1                       // coord1.1: coord1Vgpr += d1*sg1*VW + vc1
GLOBAL_OFFSET_D 12, 0, 1, 8
v_mov_b32 v8, v12                                  // temp store offset 0
v_mov_b32 v9, v13                                  // temp store offset 1
_v_add_co_u32 v12, vcc, v2, v8                     // addrVgpr = D + index*bytes (lo)
_v_addc_co_u32 v13, vcc, v3, v9, vcc               // addrVgpr = D + index*bytes (hi)
/* (d1,vc1,d0,vc0)=(3,3,0,0) */
_v_add_co_u32 v1, vcc, v1, 1                       // coord1.1: coord1Vgpr += d1*sg1*VW + vc1
GLOBAL_OFFSET_D 14, 0, 1, 8
v_mov_b32 v8, v14                                  // temp store offset 0
v_mov_b32 v9, v15                                  // temp store offset 1
_v_add_co_u32 v14, vcc, v2, v8                     // addrVgpr = D + index*bytes (lo)
_v_addc_co_u32 v15, vcc, v3, v9, vcc               // addrVgpr = D + index*bytes (hi)
v_accvgpr_read_b32 v[vgprValuC+16], acc26 // copy acc to vreg[56]
v_accvgpr_read_b32 v[vgprValuC+17], acc58 // copy acc to vreg[57]
v_accvgpr_read_b32 v[vgprValuC+18], acc30 // copy acc to vreg[58]
v_accvgpr_read_b32 v[vgprValuC+19], acc62 // copy acc to vreg[59]
v_accvgpr_read_b32 v[vgprValuC+20], acc27 // copy acc to vreg[60]
v_accvgpr_read_b32 v[vgprValuC+21], acc59 // copy acc to vreg[61]
v_accvgpr_read_b32 v[vgprValuC+22], acc31 // copy acc to vreg[62]
v_accvgpr_read_b32 v[vgprValuC+23], acc63 // copy acc to vreg[63]
s_nop 1                                            // 2 wait states required before reading vgpr

/* rC *= alpha batchElements=[(3, 0, 2, 0), (3, 0, 3, 0)] */
v_mov_b32 v11, v[vgprValuC+16]                     // store Cr
v_mul_f32 v[vgprValuC+16], s[sgprAlpha], v[vgprValuC+16] // *= alpha ( Cr = Ar * Cr)
_v_mac_f32 v[vgprValuC+16], -s[sgprAlpha+1], v[vgprValuC+17] // *= alpha ( Cr += -Ai * Ci )
v_mul_f32 v[vgprValuC+17], s[sgprAlpha], v[vgprValuC+17] // *= alpha ( Ci = Ar * Ci)
_v_mac_f32 v[vgprValuC+17], s[sgprAlpha+1], v11    // *= alpha ( Ci += Ai * Cr_backup )
v_mov_b32 v11, v[vgprValuC+18]                     // store Cr
v_mul_f32 v[vgprValuC+18], s[sgprAlpha], v[vgprValuC+18] // *= alpha ( Cr = Ar * Cr)
_v_mac_f32 v[vgprValuC+18], -s[sgprAlpha+1], v[vgprValuC+19] // *= alpha ( Cr += -Ai * Ci )
v_mul_f32 v[vgprValuC+19], s[sgprAlpha], v[vgprValuC+19] // *= alpha ( Ci = Ar * Ci)
_v_mac_f32 v[vgprValuC+19], s[sgprAlpha+1], v11    // *= alpha ( Ci += Ai * Cr_backup )
	;; [unrolled: 5-line block ×4, first 2 shown]

/* apply mask, calc new C and issue writes */
_global_store_b128 v[12:13], v[16:19], off         // store D
_global_store_b128 v[14:15], v[20:23], off         // store D
s_nop 0                                            // 1 wait state required when next inst writes vgprs held by previous dwordx4 store inst
s_branch label_GW_End_60                           // jump to end
GW_B0_E1_52:

/* edge=1, allocate 8 sgpr. perBatchTmpS=4 perBatchMaskS=0 perElementMaskS=2 elementsPerBatch=2 */
/* optSingleColVgpr=0 optSharedColVgpr=0 optSGPRUsage=None optSrdIncForRow=0 */

/******************************************/
/* Global Write Alpha Edge Batch #0 (d1,d0,vc1,vc0) = */
/*    (0,0,0,0:vw1); (0,0,0,1:vw1)        */
/******************************************/

/* calc coords, apply mask, and issue loads (if necessary) */
/* (d1,vc1,d0,vc0)=(0,0,0,0) */
GLOBAL_OFFSET_D 12, 0, 1, 8
v_mov_b32 v8, v12                                  // temp store offset 0
v_mov_b32 v9, v13                                  // temp store offset 1
v_cmp_lt_u32 s[20:21], v0, s[sgprSizesFree+0]      // coord0 < size0
v_cmp_lt_u32 s[22:23], v1, s[sgprSizesFree+1]      // coord1 < size1
s_and_b64 s[24:25], s[20:21], s[22:23]             // in0 && in1
_v_add_co_u32 v12, vcc, v2, v8                     // addrVgpr = D + index*bytes (lo)
_v_addc_co_u32 v13, vcc, v3, v9, vcc               // addrVgpr = D + index*bytes (hi)
/* (d1,vc1,d0,vc0)=(0,0,0,1) */
_v_add_co_u32 v6, vcc, v0, 1                       // coord0.1: coord0 += d0*sg0*VW + vc0
GLOBAL_OFFSET_D 16, 6, 1, 8
v_mov_b32 v8, v16                                  // temp store offset 0
v_mov_b32 v9, v17                                  // temp store offset 1
v_cmp_lt_u32 s[20:21], v6, s[sgprSizesFree+0]      // coord0 < size0
v_cmp_lt_u32 s[22:23], v1, s[sgprSizesFree+1]      // coord1 < size1
s_and_b64 s[26:27], s[20:21], s[22:23]             // in0 && in1
_v_add_co_u32 v16, vcc, v2, v8                     // addrVgpr = D + index*bytes (lo)
_v_addc_co_u32 v17, vcc, v3, v9, vcc               // addrVgpr = D + index*bytes (hi)
v_accvgpr_read_b32 v[vgprValuC+14], acc0 // copy acc to vreg[0]
v_accvgpr_read_b32 v[vgprValuC+15], acc32 // copy acc to vreg[1]
v_accvgpr_read_b32 v[vgprValuC+18], acc4 // copy acc to vreg[2]
v_accvgpr_read_b32 v[vgprValuC+19], acc36 // copy acc to vreg[3]
s_nop 1                                            // 2 wait states required before reading vgpr

/* rC *= alpha batchElements=[(0, 0, 0, 0), (0, 0, 0, 1)] */
v_mov_b32 v11, v[vgprValuC+14]                     // store Cr
v_mul_f32 v[vgprValuC+14], s[sgprAlpha], v[vgprValuC+14] // *= alpha ( Cr = Ar * Cr)
_v_mac_f32 v[vgprValuC+14], -s[sgprAlpha+1], v[vgprValuC+15] // *= alpha ( Cr += -Ai * Ci )
v_mul_f32 v[vgprValuC+15], s[sgprAlpha], v[vgprValuC+15] // *= alpha ( Ci = Ar * Ci)
_v_mac_f32 v[vgprValuC+15], s[sgprAlpha+1], v11    // *= alpha ( Ci += Ai * Cr_backup )
v_mov_b32 v11, v[vgprValuC+18]                     // store Cr
v_mul_f32 v[vgprValuC+18], s[sgprAlpha], v[vgprValuC+18] // *= alpha ( Cr = Ar * Cr)
_v_mac_f32 v[vgprValuC+18], -s[sgprAlpha+1], v[vgprValuC+19] // *= alpha ( Cr += -Ai * Ci )
v_mul_f32 v[vgprValuC+19], s[sgprAlpha], v[vgprValuC+19] // *= alpha ( Ci = Ar * Ci)
_v_mac_f32 v[vgprValuC+19], s[sgprAlpha+1], v11    // *= alpha ( Ci += Ai * Cr_backup )

/* apply mask, calc new C and issue writes */
s_mov_b64 exec, s[24:25]                           // sgprs -> exec
_global_store_b64 v[12:13], v[14:15], off          // store D
s_mov_b64 exec, s[26:27]                           // sgprs -> exec
_global_store_b64 v[16:17], v[18:19], off          // store D
s_mov_b64 exec, -1                                 // full mask -> exec
s_nop 0                                            // 1 wait state required when next inst writes vgprs held by previous dwordx4 store inst
/* optSingleColVgpr=0 optSharedColVgpr=0 optSGPRUsage=None optSrdIncForRow=0 */

/******************************************/
/* Global Write Alpha Edge Batch #1 (d1,d0,vc1,vc0) = */
/*    (0,0,1,0:vw1); (0,0,1,1:vw1)        */
/******************************************/

/* calc coords, apply mask, and issue loads (if necessary) */
/* (d1,vc1,d0,vc0)=(0,1,0,0) */
_v_add_co_u32 v1, vcc, v1, 1                       // coord1.1: coord1Vgpr += d1*sg1*VW + vc1
GLOBAL_OFFSET_D 12, 0, 1, 8
v_mov_b32 v8, v12                                  // temp store offset 0
v_mov_b32 v9, v13                                  // temp store offset 1
v_cmp_lt_u32 s[20:21], v0, s[sgprSizesFree+0]      // coord0 < size0
v_cmp_lt_u32 s[22:23], v1, s[sgprSizesFree+1]      // coord1 < size1
s_and_b64 s[24:25], s[20:21], s[22:23]             // in0 && in1
_v_add_co_u32 v12, vcc, v2, v8                     // addrVgpr = D + index*bytes (lo)
_v_addc_co_u32 v13, vcc, v3, v9, vcc               // addrVgpr = D + index*bytes (hi)
/* (d1,vc1,d0,vc0)=(0,1,0,1) */
_v_add_co_u32 v6, vcc, v0, 1                       // coord0.1: coord0 += d0*sg0*VW + vc0
GLOBAL_OFFSET_D 16, 6, 1, 8
v_mov_b32 v8, v16                                  // temp store offset 0
v_mov_b32 v9, v17                                  // temp store offset 1
v_cmp_lt_u32 s[20:21], v6, s[sgprSizesFree+0]      // coord0 < size0
v_cmp_lt_u32 s[22:23], v1, s[sgprSizesFree+1]      // coord1 < size1
s_and_b64 s[26:27], s[20:21], s[22:23]             // in0 && in1
_v_add_co_u32 v16, vcc, v2, v8                     // addrVgpr = D + index*bytes (lo)
_v_addc_co_u32 v17, vcc, v3, v9, vcc               // addrVgpr = D + index*bytes (hi)
v_accvgpr_read_b32 v[vgprValuC+14], acc1 // copy acc to vreg[4]
v_accvgpr_read_b32 v[vgprValuC+15], acc33 // copy acc to vreg[5]
v_accvgpr_read_b32 v[vgprValuC+18], acc5 // copy acc to vreg[6]
v_accvgpr_read_b32 v[vgprValuC+19], acc37 // copy acc to vreg[7]
s_nop 1                                            // 2 wait states required before reading vgpr

/* rC *= alpha batchElements=[(0, 0, 1, 0), (0, 0, 1, 1)] */
v_mov_b32 v11, v[vgprValuC+14]                     // store Cr
v_mul_f32 v[vgprValuC+14], s[sgprAlpha], v[vgprValuC+14] // *= alpha ( Cr = Ar * Cr)
_v_mac_f32 v[vgprValuC+14], -s[sgprAlpha+1], v[vgprValuC+15] // *= alpha ( Cr += -Ai * Ci )
v_mul_f32 v[vgprValuC+15], s[sgprAlpha], v[vgprValuC+15] // *= alpha ( Ci = Ar * Ci)
_v_mac_f32 v[vgprValuC+15], s[sgprAlpha+1], v11    // *= alpha ( Ci += Ai * Cr_backup )
v_mov_b32 v11, v[vgprValuC+18]                     // store Cr
v_mul_f32 v[vgprValuC+18], s[sgprAlpha], v[vgprValuC+18] // *= alpha ( Cr = Ar * Cr)
_v_mac_f32 v[vgprValuC+18], -s[sgprAlpha+1], v[vgprValuC+19] // *= alpha ( Cr += -Ai * Ci )
v_mul_f32 v[vgprValuC+19], s[sgprAlpha], v[vgprValuC+19] // *= alpha ( Ci = Ar * Ci)
_v_mac_f32 v[vgprValuC+19], s[sgprAlpha+1], v11    // *= alpha ( Ci += Ai * Cr_backup )

/* apply mask, calc new C and issue writes */
s_mov_b64 exec, s[24:25]                           // sgprs -> exec
_global_store_b64 v[12:13], v[14:15], off          // store D
s_mov_b64 exec, s[26:27]                           // sgprs -> exec
_global_store_b64 v[16:17], v[18:19], off          // store D
s_mov_b64 exec, -1                                 // full mask -> exec
s_nop 0                                            // 1 wait state required when next inst writes vgprs held by previous dwordx4 store inst
/* optSingleColVgpr=0 optSharedColVgpr=0 optSGPRUsage=None optSrdIncForRow=0 */

/******************************************/
/* Global Write Alpha Edge Batch #2 (d1,d0,vc1,vc0) = */
/*    (0,0,2,0:vw1); (0,0,2,1:vw1)        */
/******************************************/

/* calc coords, apply mask, and issue loads (if necessary) */
/* (d1,vc1,d0,vc0)=(0,2,0,0) */
_v_add_co_u32 v1, vcc, v1, 1                       // coord1.1: coord1Vgpr += d1*sg1*VW + vc1
GLOBAL_OFFSET_D 12, 0, 1, 8
v_mov_b32 v8, v12                                  // temp store offset 0
v_mov_b32 v9, v13                                  // temp store offset 1
v_cmp_lt_u32 s[20:21], v0, s[sgprSizesFree+0]      // coord0 < size0
v_cmp_lt_u32 s[22:23], v1, s[sgprSizesFree+1]      // coord1 < size1
s_and_b64 s[24:25], s[20:21], s[22:23]             // in0 && in1
_v_add_co_u32 v12, vcc, v2, v8                     // addrVgpr = D + index*bytes (lo)
_v_addc_co_u32 v13, vcc, v3, v9, vcc               // addrVgpr = D + index*bytes (hi)
/* (d1,vc1,d0,vc0)=(0,2,0,1) */
_v_add_co_u32 v6, vcc, v0, 1                       // coord0.1: coord0 += d0*sg0*VW + vc0
GLOBAL_OFFSET_D 16, 6, 1, 8
v_mov_b32 v8, v16                                  // temp store offset 0
v_mov_b32 v9, v17                                  // temp store offset 1
v_cmp_lt_u32 s[20:21], v6, s[sgprSizesFree+0]      // coord0 < size0
v_cmp_lt_u32 s[22:23], v1, s[sgprSizesFree+1]      // coord1 < size1
s_and_b64 s[26:27], s[20:21], s[22:23]             // in0 && in1
_v_add_co_u32 v16, vcc, v2, v8                     // addrVgpr = D + index*bytes (lo)
_v_addc_co_u32 v17, vcc, v3, v9, vcc               // addrVgpr = D + index*bytes (hi)
v_accvgpr_read_b32 v[vgprValuC+14], acc2 // copy acc to vreg[8]
v_accvgpr_read_b32 v[vgprValuC+15], acc34 // copy acc to vreg[9]
v_accvgpr_read_b32 v[vgprValuC+18], acc6 // copy acc to vreg[10]
v_accvgpr_read_b32 v[vgprValuC+19], acc38 // copy acc to vreg[11]
s_nop 1                                            // 2 wait states required before reading vgpr

/* rC *= alpha batchElements=[(0, 0, 2, 0), (0, 0, 2, 1)] */
v_mov_b32 v11, v[vgprValuC+14]                     // store Cr
v_mul_f32 v[vgprValuC+14], s[sgprAlpha], v[vgprValuC+14] // *= alpha ( Cr = Ar * Cr)
_v_mac_f32 v[vgprValuC+14], -s[sgprAlpha+1], v[vgprValuC+15] // *= alpha ( Cr += -Ai * Ci )
v_mul_f32 v[vgprValuC+15], s[sgprAlpha], v[vgprValuC+15] // *= alpha ( Ci = Ar * Ci)
_v_mac_f32 v[vgprValuC+15], s[sgprAlpha+1], v11    // *= alpha ( Ci += Ai * Cr_backup )
v_mov_b32 v11, v[vgprValuC+18]                     // store Cr
v_mul_f32 v[vgprValuC+18], s[sgprAlpha], v[vgprValuC+18] // *= alpha ( Cr = Ar * Cr)
_v_mac_f32 v[vgprValuC+18], -s[sgprAlpha+1], v[vgprValuC+19] // *= alpha ( Cr += -Ai * Ci )
v_mul_f32 v[vgprValuC+19], s[sgprAlpha], v[vgprValuC+19] // *= alpha ( Ci = Ar * Ci)
_v_mac_f32 v[vgprValuC+19], s[sgprAlpha+1], v11    // *= alpha ( Ci += Ai * Cr_backup )

/* apply mask, calc new C and issue writes */
s_mov_b64 exec, s[24:25]                           // sgprs -> exec
_global_store_b64 v[12:13], v[14:15], off          // store D
s_mov_b64 exec, s[26:27]                           // sgprs -> exec
_global_store_b64 v[16:17], v[18:19], off          // store D
s_mov_b64 exec, -1                                 // full mask -> exec
s_nop 0                                            // 1 wait state required when next inst writes vgprs held by previous dwordx4 store inst
/* optSingleColVgpr=0 optSharedColVgpr=0 optSGPRUsage=None optSrdIncForRow=0 */

/******************************************/
/* Global Write Alpha Edge Batch #3 (d1,d0,vc1,vc0) = */
/*    (0,0,3,0:vw1); (0,0,3,1:vw1)        */
/******************************************/

/* calc coords, apply mask, and issue loads (if necessary) */
/* (d1,vc1,d0,vc0)=(0,3,0,0) */
_v_add_co_u32 v1, vcc, v1, 1                       // coord1.1: coord1Vgpr += d1*sg1*VW + vc1
GLOBAL_OFFSET_D 12, 0, 1, 8
v_mov_b32 v8, v12                                  // temp store offset 0
v_mov_b32 v9, v13                                  // temp store offset 1
v_cmp_lt_u32 s[20:21], v0, s[sgprSizesFree+0]      // coord0 < size0
v_cmp_lt_u32 s[22:23], v1, s[sgprSizesFree+1]      // coord1 < size1
s_and_b64 s[24:25], s[20:21], s[22:23]             // in0 && in1
_v_add_co_u32 v12, vcc, v2, v8                     // addrVgpr = D + index*bytes (lo)
_v_addc_co_u32 v13, vcc, v3, v9, vcc               // addrVgpr = D + index*bytes (hi)
/* (d1,vc1,d0,vc0)=(0,3,0,1) */
_v_add_co_u32 v6, vcc, v0, 1                       // coord0.1: coord0 += d0*sg0*VW + vc0
GLOBAL_OFFSET_D 16, 6, 1, 8
v_mov_b32 v8, v16                                  // temp store offset 0
v_mov_b32 v9, v17                                  // temp store offset 1
v_cmp_lt_u32 s[20:21], v6, s[sgprSizesFree+0]      // coord0 < size0
v_cmp_lt_u32 s[22:23], v1, s[sgprSizesFree+1]      // coord1 < size1
s_and_b64 s[26:27], s[20:21], s[22:23]             // in0 && in1
_v_add_co_u32 v16, vcc, v2, v8                     // addrVgpr = D + index*bytes (lo)
_v_addc_co_u32 v17, vcc, v3, v9, vcc               // addrVgpr = D + index*bytes (hi)
v_accvgpr_read_b32 v[vgprValuC+14], acc3 // copy acc to vreg[12]
v_accvgpr_read_b32 v[vgprValuC+15], acc35 // copy acc to vreg[13]
v_accvgpr_read_b32 v[vgprValuC+18], acc7 // copy acc to vreg[14]
v_accvgpr_read_b32 v[vgprValuC+19], acc39 // copy acc to vreg[15]
s_nop 1                                            // 2 wait states required before reading vgpr

/* rC *= alpha batchElements=[(0, 0, 3, 0), (0, 0, 3, 1)] */
v_mov_b32 v11, v[vgprValuC+14]                     // store Cr
v_mul_f32 v[vgprValuC+14], s[sgprAlpha], v[vgprValuC+14] // *= alpha ( Cr = Ar * Cr)
_v_mac_f32 v[vgprValuC+14], -s[sgprAlpha+1], v[vgprValuC+15] // *= alpha ( Cr += -Ai * Ci )
v_mul_f32 v[vgprValuC+15], s[sgprAlpha], v[vgprValuC+15] // *= alpha ( Ci = Ar * Ci)
_v_mac_f32 v[vgprValuC+15], s[sgprAlpha+1], v11    // *= alpha ( Ci += Ai * Cr_backup )
v_mov_b32 v11, v[vgprValuC+18]                     // store Cr
v_mul_f32 v[vgprValuC+18], s[sgprAlpha], v[vgprValuC+18] // *= alpha ( Cr = Ar * Cr)
_v_mac_f32 v[vgprValuC+18], -s[sgprAlpha+1], v[vgprValuC+19] // *= alpha ( Cr += -Ai * Ci )
v_mul_f32 v[vgprValuC+19], s[sgprAlpha], v[vgprValuC+19] // *= alpha ( Ci = Ar * Ci)
_v_mac_f32 v[vgprValuC+19], s[sgprAlpha+1], v11    // *= alpha ( Ci += Ai * Cr_backup )

/* apply mask, calc new C and issue writes */
s_mov_b64 exec, s[24:25]                           // sgprs -> exec
_global_store_b64 v[12:13], v[14:15], off          // store D
s_mov_b64 exec, s[26:27]                           // sgprs -> exec
_global_store_b64 v[16:17], v[18:19], off          // store D
s_mov_b64 exec, -1                                 // full mask -> exec
s_nop 0                                            // 1 wait state required when next inst writes vgprs held by previous dwordx4 store inst
/* optSingleColVgpr=0 optSharedColVgpr=0 optSGPRUsage=None optSrdIncForRow=0 */

/******************************************/
/* Global Write Alpha Edge Batch #4 (d1,d0,vc1,vc0) = */
/*    (1,0,0,0:vw1); (1,0,0,1:vw1)        */
/******************************************/

/* calc coords, apply mask, and issue loads (if necessary) */
/* (d1,vc1,d0,vc0)=(1,0,0,0) */
_v_add_co_u32 v1, vcc, v1, 13                      // coord1.1: coord1Vgpr += d1*sg1*VW + vc1
GLOBAL_OFFSET_D 12, 0, 1, 8
v_mov_b32 v8, v12                                  // temp store offset 0
v_mov_b32 v9, v13                                  // temp store offset 1
v_cmp_lt_u32 s[20:21], v0, s[sgprSizesFree+0]      // coord0 < size0
v_cmp_lt_u32 s[22:23], v1, s[sgprSizesFree+1]      // coord1 < size1
s_and_b64 s[24:25], s[20:21], s[22:23]             // in0 && in1
_v_add_co_u32 v12, vcc, v2, v8                     // addrVgpr = D + index*bytes (lo)
_v_addc_co_u32 v13, vcc, v3, v9, vcc               // addrVgpr = D + index*bytes (hi)
/* (d1,vc1,d0,vc0)=(1,0,0,1) */
_v_add_co_u32 v6, vcc, v0, 1                       // coord0.1: coord0 += d0*sg0*VW + vc0
GLOBAL_OFFSET_D 16, 6, 1, 8
v_mov_b32 v8, v16                                  // temp store offset 0
v_mov_b32 v9, v17                                  // temp store offset 1
v_cmp_lt_u32 s[20:21], v6, s[sgprSizesFree+0]      // coord0 < size0
v_cmp_lt_u32 s[22:23], v1, s[sgprSizesFree+1]      // coord1 < size1
s_and_b64 s[26:27], s[20:21], s[22:23]             // in0 && in1
_v_add_co_u32 v16, vcc, v2, v8                     // addrVgpr = D + index*bytes (lo)
_v_addc_co_u32 v17, vcc, v3, v9, vcc               // addrVgpr = D + index*bytes (hi)
v_accvgpr_read_b32 v[vgprValuC+14], acc8 // copy acc to vreg[16]
v_accvgpr_read_b32 v[vgprValuC+15], acc40 // copy acc to vreg[17]
v_accvgpr_read_b32 v[vgprValuC+18], acc12 // copy acc to vreg[18]
v_accvgpr_read_b32 v[vgprValuC+19], acc44 // copy acc to vreg[19]
s_nop 1                                            // 2 wait states required before reading vgpr

/* rC *= alpha batchElements=[(1, 0, 0, 0), (1, 0, 0, 1)] */
v_mov_b32 v11, v[vgprValuC+14]                     // store Cr
v_mul_f32 v[vgprValuC+14], s[sgprAlpha], v[vgprValuC+14] // *= alpha ( Cr = Ar * Cr)
_v_mac_f32 v[vgprValuC+14], -s[sgprAlpha+1], v[vgprValuC+15] // *= alpha ( Cr += -Ai * Ci )
v_mul_f32 v[vgprValuC+15], s[sgprAlpha], v[vgprValuC+15] // *= alpha ( Ci = Ar * Ci)
_v_mac_f32 v[vgprValuC+15], s[sgprAlpha+1], v11    // *= alpha ( Ci += Ai * Cr_backup )
v_mov_b32 v11, v[vgprValuC+18]                     // store Cr
v_mul_f32 v[vgprValuC+18], s[sgprAlpha], v[vgprValuC+18] // *= alpha ( Cr = Ar * Cr)
_v_mac_f32 v[vgprValuC+18], -s[sgprAlpha+1], v[vgprValuC+19] // *= alpha ( Cr += -Ai * Ci )
v_mul_f32 v[vgprValuC+19], s[sgprAlpha], v[vgprValuC+19] // *= alpha ( Ci = Ar * Ci)
_v_mac_f32 v[vgprValuC+19], s[sgprAlpha+1], v11    // *= alpha ( Ci += Ai * Cr_backup )

/* apply mask, calc new C and issue writes */
s_mov_b64 exec, s[24:25]                           // sgprs -> exec
_global_store_b64 v[12:13], v[14:15], off          // store D
s_mov_b64 exec, s[26:27]                           // sgprs -> exec
_global_store_b64 v[16:17], v[18:19], off          // store D
s_mov_b64 exec, -1                                 // full mask -> exec
s_nop 0                                            // 1 wait state required when next inst writes vgprs held by previous dwordx4 store inst
/* optSingleColVgpr=0 optSharedColVgpr=0 optSGPRUsage=None optSrdIncForRow=0 */

/******************************************/
/* Global Write Alpha Edge Batch #5 (d1,d0,vc1,vc0) = */
/*    (1,0,1,0:vw1); (1,0,1,1:vw1)        */
/******************************************/

/* calc coords, apply mask, and issue loads (if necessary) */
/* (d1,vc1,d0,vc0)=(1,1,0,0) */
_v_add_co_u32 v1, vcc, v1, 1                       // coord1.1: coord1Vgpr += d1*sg1*VW + vc1
GLOBAL_OFFSET_D 12, 0, 1, 8
v_mov_b32 v8, v12                                  // temp store offset 0
v_mov_b32 v9, v13                                  // temp store offset 1
v_cmp_lt_u32 s[20:21], v0, s[sgprSizesFree+0]      // coord0 < size0
v_cmp_lt_u32 s[22:23], v1, s[sgprSizesFree+1]      // coord1 < size1
s_and_b64 s[24:25], s[20:21], s[22:23]             // in0 && in1
_v_add_co_u32 v12, vcc, v2, v8                     // addrVgpr = D + index*bytes (lo)
_v_addc_co_u32 v13, vcc, v3, v9, vcc               // addrVgpr = D + index*bytes (hi)
/* (d1,vc1,d0,vc0)=(1,1,0,1) */
_v_add_co_u32 v6, vcc, v0, 1                       // coord0.1: coord0 += d0*sg0*VW + vc0
GLOBAL_OFFSET_D 16, 6, 1, 8
v_mov_b32 v8, v16                                  // temp store offset 0
v_mov_b32 v9, v17                                  // temp store offset 1
v_cmp_lt_u32 s[20:21], v6, s[sgprSizesFree+0]      // coord0 < size0
v_cmp_lt_u32 s[22:23], v1, s[sgprSizesFree+1]      // coord1 < size1
s_and_b64 s[26:27], s[20:21], s[22:23]             // in0 && in1
_v_add_co_u32 v16, vcc, v2, v8                     // addrVgpr = D + index*bytes (lo)
_v_addc_co_u32 v17, vcc, v3, v9, vcc               // addrVgpr = D + index*bytes (hi)
v_accvgpr_read_b32 v[vgprValuC+14], acc9 // copy acc to vreg[20]
v_accvgpr_read_b32 v[vgprValuC+15], acc41 // copy acc to vreg[21]
v_accvgpr_read_b32 v[vgprValuC+18], acc13 // copy acc to vreg[22]
v_accvgpr_read_b32 v[vgprValuC+19], acc45 // copy acc to vreg[23]
s_nop 1                                            // 2 wait states required before reading vgpr

/* rC *= alpha batchElements=[(1, 0, 1, 0), (1, 0, 1, 1)] */
v_mov_b32 v11, v[vgprValuC+14]                     // store Cr
v_mul_f32 v[vgprValuC+14], s[sgprAlpha], v[vgprValuC+14] // *= alpha ( Cr = Ar * Cr)
_v_mac_f32 v[vgprValuC+14], -s[sgprAlpha+1], v[vgprValuC+15] // *= alpha ( Cr += -Ai * Ci )
v_mul_f32 v[vgprValuC+15], s[sgprAlpha], v[vgprValuC+15] // *= alpha ( Ci = Ar * Ci)
_v_mac_f32 v[vgprValuC+15], s[sgprAlpha+1], v11    // *= alpha ( Ci += Ai * Cr_backup )
v_mov_b32 v11, v[vgprValuC+18]                     // store Cr
v_mul_f32 v[vgprValuC+18], s[sgprAlpha], v[vgprValuC+18] // *= alpha ( Cr = Ar * Cr)
_v_mac_f32 v[vgprValuC+18], -s[sgprAlpha+1], v[vgprValuC+19] // *= alpha ( Cr += -Ai * Ci )
v_mul_f32 v[vgprValuC+19], s[sgprAlpha], v[vgprValuC+19] // *= alpha ( Ci = Ar * Ci)
_v_mac_f32 v[vgprValuC+19], s[sgprAlpha+1], v11    // *= alpha ( Ci += Ai * Cr_backup )

/* apply mask, calc new C and issue writes */
s_mov_b64 exec, s[24:25]                           // sgprs -> exec
_global_store_b64 v[12:13], v[14:15], off          // store D
s_mov_b64 exec, s[26:27]                           // sgprs -> exec
_global_store_b64 v[16:17], v[18:19], off          // store D
s_mov_b64 exec, -1                                 // full mask -> exec
s_nop 0                                            // 1 wait state required when next inst writes vgprs held by previous dwordx4 store inst
/* optSingleColVgpr=0 optSharedColVgpr=0 optSGPRUsage=None optSrdIncForRow=0 */

/******************************************/
/* Global Write Alpha Edge Batch #6 (d1,d0,vc1,vc0) = */
/*    (1,0,2,0:vw1); (1,0,2,1:vw1)        */
/******************************************/

/* calc coords, apply mask, and issue loads (if necessary) */
/* (d1,vc1,d0,vc0)=(1,2,0,0) */
_v_add_co_u32 v1, vcc, v1, 1                       // coord1.1: coord1Vgpr += d1*sg1*VW + vc1
GLOBAL_OFFSET_D 12, 0, 1, 8
v_mov_b32 v8, v12                                  // temp store offset 0
v_mov_b32 v9, v13                                  // temp store offset 1
v_cmp_lt_u32 s[20:21], v0, s[sgprSizesFree+0]      // coord0 < size0
v_cmp_lt_u32 s[22:23], v1, s[sgprSizesFree+1]      // coord1 < size1
s_and_b64 s[24:25], s[20:21], s[22:23]             // in0 && in1
_v_add_co_u32 v12, vcc, v2, v8                     // addrVgpr = D + index*bytes (lo)
_v_addc_co_u32 v13, vcc, v3, v9, vcc               // addrVgpr = D + index*bytes (hi)
/* (d1,vc1,d0,vc0)=(1,2,0,1) */
_v_add_co_u32 v6, vcc, v0, 1                       // coord0.1: coord0 += d0*sg0*VW + vc0
GLOBAL_OFFSET_D 16, 6, 1, 8
v_mov_b32 v8, v16                                  // temp store offset 0
v_mov_b32 v9, v17                                  // temp store offset 1
v_cmp_lt_u32 s[20:21], v6, s[sgprSizesFree+0]      // coord0 < size0
v_cmp_lt_u32 s[22:23], v1, s[sgprSizesFree+1]      // coord1 < size1
s_and_b64 s[26:27], s[20:21], s[22:23]             // in0 && in1
_v_add_co_u32 v16, vcc, v2, v8                     // addrVgpr = D + index*bytes (lo)
_v_addc_co_u32 v17, vcc, v3, v9, vcc               // addrVgpr = D + index*bytes (hi)
v_accvgpr_read_b32 v[vgprValuC+14], acc10 // copy acc to vreg[24]
v_accvgpr_read_b32 v[vgprValuC+15], acc42 // copy acc to vreg[25]
v_accvgpr_read_b32 v[vgprValuC+18], acc14 // copy acc to vreg[26]
v_accvgpr_read_b32 v[vgprValuC+19], acc46 // copy acc to vreg[27]
s_nop 1                                            // 2 wait states required before reading vgpr

/* rC *= alpha batchElements=[(1, 0, 2, 0), (1, 0, 2, 1)] */
v_mov_b32 v11, v[vgprValuC+14]                     // store Cr
v_mul_f32 v[vgprValuC+14], s[sgprAlpha], v[vgprValuC+14] // *= alpha ( Cr = Ar * Cr)
_v_mac_f32 v[vgprValuC+14], -s[sgprAlpha+1], v[vgprValuC+15] // *= alpha ( Cr += -Ai * Ci )
v_mul_f32 v[vgprValuC+15], s[sgprAlpha], v[vgprValuC+15] // *= alpha ( Ci = Ar * Ci)
_v_mac_f32 v[vgprValuC+15], s[sgprAlpha+1], v11    // *= alpha ( Ci += Ai * Cr_backup )
v_mov_b32 v11, v[vgprValuC+18]                     // store Cr
v_mul_f32 v[vgprValuC+18], s[sgprAlpha], v[vgprValuC+18] // *= alpha ( Cr = Ar * Cr)
_v_mac_f32 v[vgprValuC+18], -s[sgprAlpha+1], v[vgprValuC+19] // *= alpha ( Cr += -Ai * Ci )
v_mul_f32 v[vgprValuC+19], s[sgprAlpha], v[vgprValuC+19] // *= alpha ( Ci = Ar * Ci)
_v_mac_f32 v[vgprValuC+19], s[sgprAlpha+1], v11    // *= alpha ( Ci += Ai * Cr_backup )

/* apply mask, calc new C and issue writes */
s_mov_b64 exec, s[24:25]                           // sgprs -> exec
_global_store_b64 v[12:13], v[14:15], off          // store D
s_mov_b64 exec, s[26:27]                           // sgprs -> exec
_global_store_b64 v[16:17], v[18:19], off          // store D
s_mov_b64 exec, -1                                 // full mask -> exec
s_nop 0                                            // 1 wait state required when next inst writes vgprs held by previous dwordx4 store inst
/* optSingleColVgpr=0 optSharedColVgpr=0 optSGPRUsage=None optSrdIncForRow=0 */

/******************************************/
/* Global Write Alpha Edge Batch #7 (d1,d0,vc1,vc0) = */
/*    (1,0,3,0:vw1); (1,0,3,1:vw1)        */
/******************************************/

/* calc coords, apply mask, and issue loads (if necessary) */
/* (d1,vc1,d0,vc0)=(1,3,0,0) */
_v_add_co_u32 v1, vcc, v1, 1                       // coord1.1: coord1Vgpr += d1*sg1*VW + vc1
GLOBAL_OFFSET_D 12, 0, 1, 8
v_mov_b32 v8, v12                                  // temp store offset 0
v_mov_b32 v9, v13                                  // temp store offset 1
v_cmp_lt_u32 s[20:21], v0, s[sgprSizesFree+0]      // coord0 < size0
v_cmp_lt_u32 s[22:23], v1, s[sgprSizesFree+1]      // coord1 < size1
s_and_b64 s[24:25], s[20:21], s[22:23]             // in0 && in1
_v_add_co_u32 v12, vcc, v2, v8                     // addrVgpr = D + index*bytes (lo)
_v_addc_co_u32 v13, vcc, v3, v9, vcc               // addrVgpr = D + index*bytes (hi)
/* (d1,vc1,d0,vc0)=(1,3,0,1) */
_v_add_co_u32 v6, vcc, v0, 1                       // coord0.1: coord0 += d0*sg0*VW + vc0
GLOBAL_OFFSET_D 16, 6, 1, 8
v_mov_b32 v8, v16                                  // temp store offset 0
v_mov_b32 v9, v17                                  // temp store offset 1
v_cmp_lt_u32 s[20:21], v6, s[sgprSizesFree+0]      // coord0 < size0
v_cmp_lt_u32 s[22:23], v1, s[sgprSizesFree+1]      // coord1 < size1
s_and_b64 s[26:27], s[20:21], s[22:23]             // in0 && in1
_v_add_co_u32 v16, vcc, v2, v8                     // addrVgpr = D + index*bytes (lo)
_v_addc_co_u32 v17, vcc, v3, v9, vcc               // addrVgpr = D + index*bytes (hi)
v_accvgpr_read_b32 v[vgprValuC+14], acc11 // copy acc to vreg[28]
v_accvgpr_read_b32 v[vgprValuC+15], acc43 // copy acc to vreg[29]
v_accvgpr_read_b32 v[vgprValuC+18], acc15 // copy acc to vreg[30]
v_accvgpr_read_b32 v[vgprValuC+19], acc47 // copy acc to vreg[31]
s_nop 1                                            // 2 wait states required before reading vgpr

/* rC *= alpha batchElements=[(1, 0, 3, 0), (1, 0, 3, 1)] */
v_mov_b32 v11, v[vgprValuC+14]                     // store Cr
v_mul_f32 v[vgprValuC+14], s[sgprAlpha], v[vgprValuC+14] // *= alpha ( Cr = Ar * Cr)
_v_mac_f32 v[vgprValuC+14], -s[sgprAlpha+1], v[vgprValuC+15] // *= alpha ( Cr += -Ai * Ci )
v_mul_f32 v[vgprValuC+15], s[sgprAlpha], v[vgprValuC+15] // *= alpha ( Ci = Ar * Ci)
_v_mac_f32 v[vgprValuC+15], s[sgprAlpha+1], v11    // *= alpha ( Ci += Ai * Cr_backup )
v_mov_b32 v11, v[vgprValuC+18]                     // store Cr
v_mul_f32 v[vgprValuC+18], s[sgprAlpha], v[vgprValuC+18] // *= alpha ( Cr = Ar * Cr)
_v_mac_f32 v[vgprValuC+18], -s[sgprAlpha+1], v[vgprValuC+19] // *= alpha ( Cr += -Ai * Ci )
v_mul_f32 v[vgprValuC+19], s[sgprAlpha], v[vgprValuC+19] // *= alpha ( Ci = Ar * Ci)
_v_mac_f32 v[vgprValuC+19], s[sgprAlpha+1], v11    // *= alpha ( Ci += Ai * Cr_backup )

/* apply mask, calc new C and issue writes */
s_mov_b64 exec, s[24:25]                           // sgprs -> exec
_global_store_b64 v[12:13], v[14:15], off          // store D
s_mov_b64 exec, s[26:27]                           // sgprs -> exec
_global_store_b64 v[16:17], v[18:19], off          // store D
s_mov_b64 exec, -1                                 // full mask -> exec
s_nop 0                                            // 1 wait state required when next inst writes vgprs held by previous dwordx4 store inst
/* optSingleColVgpr=0 optSharedColVgpr=0 optSGPRUsage=None optSrdIncForRow=0 */

/******************************************/
/* Global Write Alpha Edge Batch #8 (d1,d0,vc1,vc0) = */
/*    (2,0,0,0:vw1); (2,0,0,1:vw1)        */
/******************************************/

/* calc coords, apply mask, and issue loads (if necessary) */
/* (d1,vc1,d0,vc0)=(2,0,0,0) */
_v_add_co_u32 v1, vcc, v1, 13                      // coord1.1: coord1Vgpr += d1*sg1*VW + vc1
GLOBAL_OFFSET_D 12, 0, 1, 8
v_mov_b32 v8, v12                                  // temp store offset 0
v_mov_b32 v9, v13                                  // temp store offset 1
v_cmp_lt_u32 s[20:21], v0, s[sgprSizesFree+0]      // coord0 < size0
v_cmp_lt_u32 s[22:23], v1, s[sgprSizesFree+1]      // coord1 < size1
s_and_b64 s[24:25], s[20:21], s[22:23]             // in0 && in1
_v_add_co_u32 v12, vcc, v2, v8                     // addrVgpr = D + index*bytes (lo)
_v_addc_co_u32 v13, vcc, v3, v9, vcc               // addrVgpr = D + index*bytes (hi)
/* (d1,vc1,d0,vc0)=(2,0,0,1) */
_v_add_co_u32 v6, vcc, v0, 1                       // coord0.1: coord0 += d0*sg0*VW + vc0
GLOBAL_OFFSET_D 16, 6, 1, 8
v_mov_b32 v8, v16                                  // temp store offset 0
v_mov_b32 v9, v17                                  // temp store offset 1
v_cmp_lt_u32 s[20:21], v6, s[sgprSizesFree+0]      // coord0 < size0
v_cmp_lt_u32 s[22:23], v1, s[sgprSizesFree+1]      // coord1 < size1
s_and_b64 s[26:27], s[20:21], s[22:23]             // in0 && in1
_v_add_co_u32 v16, vcc, v2, v8                     // addrVgpr = D + index*bytes (lo)
_v_addc_co_u32 v17, vcc, v3, v9, vcc               // addrVgpr = D + index*bytes (hi)
v_accvgpr_read_b32 v[vgprValuC+14], acc16 // copy acc to vreg[32]
v_accvgpr_read_b32 v[vgprValuC+15], acc48 // copy acc to vreg[33]
v_accvgpr_read_b32 v[vgprValuC+18], acc20 // copy acc to vreg[34]
v_accvgpr_read_b32 v[vgprValuC+19], acc52 // copy acc to vreg[35]
s_nop 1                                            // 2 wait states required before reading vgpr

/* rC *= alpha batchElements=[(2, 0, 0, 0), (2, 0, 0, 1)] */
v_mov_b32 v11, v[vgprValuC+14]                     // store Cr
v_mul_f32 v[vgprValuC+14], s[sgprAlpha], v[vgprValuC+14] // *= alpha ( Cr = Ar * Cr)
_v_mac_f32 v[vgprValuC+14], -s[sgprAlpha+1], v[vgprValuC+15] // *= alpha ( Cr += -Ai * Ci )
v_mul_f32 v[vgprValuC+15], s[sgprAlpha], v[vgprValuC+15] // *= alpha ( Ci = Ar * Ci)
_v_mac_f32 v[vgprValuC+15], s[sgprAlpha+1], v11    // *= alpha ( Ci += Ai * Cr_backup )
v_mov_b32 v11, v[vgprValuC+18]                     // store Cr
v_mul_f32 v[vgprValuC+18], s[sgprAlpha], v[vgprValuC+18] // *= alpha ( Cr = Ar * Cr)
_v_mac_f32 v[vgprValuC+18], -s[sgprAlpha+1], v[vgprValuC+19] // *= alpha ( Cr += -Ai * Ci )
v_mul_f32 v[vgprValuC+19], s[sgprAlpha], v[vgprValuC+19] // *= alpha ( Ci = Ar * Ci)
_v_mac_f32 v[vgprValuC+19], s[sgprAlpha+1], v11    // *= alpha ( Ci += Ai * Cr_backup )

/* apply mask, calc new C and issue writes */
s_mov_b64 exec, s[24:25]                           // sgprs -> exec
_global_store_b64 v[12:13], v[14:15], off          // store D
s_mov_b64 exec, s[26:27]                           // sgprs -> exec
_global_store_b64 v[16:17], v[18:19], off          // store D
s_mov_b64 exec, -1                                 // full mask -> exec
s_nop 0                                            // 1 wait state required when next inst writes vgprs held by previous dwordx4 store inst
/* optSingleColVgpr=0 optSharedColVgpr=0 optSGPRUsage=None optSrdIncForRow=0 */

/******************************************/
/* Global Write Alpha Edge Batch #9 (d1,d0,vc1,vc0) = */
/*    (2,0,1,0:vw1); (2,0,1,1:vw1)        */
/******************************************/

/* calc coords, apply mask, and issue loads (if necessary) */
/* (d1,vc1,d0,vc0)=(2,1,0,0) */
_v_add_co_u32 v1, vcc, v1, 1                       // coord1.1: coord1Vgpr += d1*sg1*VW + vc1
GLOBAL_OFFSET_D 12, 0, 1, 8
v_mov_b32 v8, v12                                  // temp store offset 0
v_mov_b32 v9, v13                                  // temp store offset 1
v_cmp_lt_u32 s[20:21], v0, s[sgprSizesFree+0]      // coord0 < size0
v_cmp_lt_u32 s[22:23], v1, s[sgprSizesFree+1]      // coord1 < size1
s_and_b64 s[24:25], s[20:21], s[22:23]             // in0 && in1
_v_add_co_u32 v12, vcc, v2, v8                     // addrVgpr = D + index*bytes (lo)
_v_addc_co_u32 v13, vcc, v3, v9, vcc               // addrVgpr = D + index*bytes (hi)
/* (d1,vc1,d0,vc0)=(2,1,0,1) */
_v_add_co_u32 v6, vcc, v0, 1                       // coord0.1: coord0 += d0*sg0*VW + vc0
GLOBAL_OFFSET_D 16, 6, 1, 8
v_mov_b32 v8, v16                                  // temp store offset 0
v_mov_b32 v9, v17                                  // temp store offset 1
v_cmp_lt_u32 s[20:21], v6, s[sgprSizesFree+0]      // coord0 < size0
v_cmp_lt_u32 s[22:23], v1, s[sgprSizesFree+1]      // coord1 < size1
s_and_b64 s[26:27], s[20:21], s[22:23]             // in0 && in1
_v_add_co_u32 v16, vcc, v2, v8                     // addrVgpr = D + index*bytes (lo)
_v_addc_co_u32 v17, vcc, v3, v9, vcc               // addrVgpr = D + index*bytes (hi)
v_accvgpr_read_b32 v[vgprValuC+14], acc17 // copy acc to vreg[36]
v_accvgpr_read_b32 v[vgprValuC+15], acc49 // copy acc to vreg[37]
v_accvgpr_read_b32 v[vgprValuC+18], acc21 // copy acc to vreg[38]
v_accvgpr_read_b32 v[vgprValuC+19], acc53 // copy acc to vreg[39]
s_nop 1                                            // 2 wait states required before reading vgpr

/* rC *= alpha batchElements=[(2, 0, 1, 0), (2, 0, 1, 1)] */
v_mov_b32 v11, v[vgprValuC+14]                     // store Cr
v_mul_f32 v[vgprValuC+14], s[sgprAlpha], v[vgprValuC+14] // *= alpha ( Cr = Ar * Cr)
_v_mac_f32 v[vgprValuC+14], -s[sgprAlpha+1], v[vgprValuC+15] // *= alpha ( Cr += -Ai * Ci )
v_mul_f32 v[vgprValuC+15], s[sgprAlpha], v[vgprValuC+15] // *= alpha ( Ci = Ar * Ci)
_v_mac_f32 v[vgprValuC+15], s[sgprAlpha+1], v11    // *= alpha ( Ci += Ai * Cr_backup )
v_mov_b32 v11, v[vgprValuC+18]                     // store Cr
v_mul_f32 v[vgprValuC+18], s[sgprAlpha], v[vgprValuC+18] // *= alpha ( Cr = Ar * Cr)
_v_mac_f32 v[vgprValuC+18], -s[sgprAlpha+1], v[vgprValuC+19] // *= alpha ( Cr += -Ai * Ci )
v_mul_f32 v[vgprValuC+19], s[sgprAlpha], v[vgprValuC+19] // *= alpha ( Ci = Ar * Ci)
_v_mac_f32 v[vgprValuC+19], s[sgprAlpha+1], v11    // *= alpha ( Ci += Ai * Cr_backup )

/* apply mask, calc new C and issue writes */
s_mov_b64 exec, s[24:25]                           // sgprs -> exec
_global_store_b64 v[12:13], v[14:15], off          // store D
s_mov_b64 exec, s[26:27]                           // sgprs -> exec
_global_store_b64 v[16:17], v[18:19], off          // store D
s_mov_b64 exec, -1                                 // full mask -> exec
s_nop 0                                            // 1 wait state required when next inst writes vgprs held by previous dwordx4 store inst
/* optSingleColVgpr=0 optSharedColVgpr=0 optSGPRUsage=None optSrdIncForRow=0 */

/******************************************/
/* Global Write Alpha Edge Batch #10 (d1,d0,vc1,vc0) = */
/*    (2,0,2,0:vw1); (2,0,2,1:vw1)        */
/******************************************/

/* calc coords, apply mask, and issue loads (if necessary) */
/* (d1,vc1,d0,vc0)=(2,2,0,0) */
_v_add_co_u32 v1, vcc, v1, 1                       // coord1.1: coord1Vgpr += d1*sg1*VW + vc1
GLOBAL_OFFSET_D 12, 0, 1, 8
v_mov_b32 v8, v12                                  // temp store offset 0
v_mov_b32 v9, v13                                  // temp store offset 1
v_cmp_lt_u32 s[20:21], v0, s[sgprSizesFree+0]      // coord0 < size0
v_cmp_lt_u32 s[22:23], v1, s[sgprSizesFree+1]      // coord1 < size1
s_and_b64 s[24:25], s[20:21], s[22:23]             // in0 && in1
_v_add_co_u32 v12, vcc, v2, v8                     // addrVgpr = D + index*bytes (lo)
_v_addc_co_u32 v13, vcc, v3, v9, vcc               // addrVgpr = D + index*bytes (hi)
/* (d1,vc1,d0,vc0)=(2,2,0,1) */
_v_add_co_u32 v6, vcc, v0, 1                       // coord0.1: coord0 += d0*sg0*VW + vc0
GLOBAL_OFFSET_D 16, 6, 1, 8
v_mov_b32 v8, v16                                  // temp store offset 0
v_mov_b32 v9, v17                                  // temp store offset 1
v_cmp_lt_u32 s[20:21], v6, s[sgprSizesFree+0]      // coord0 < size0
v_cmp_lt_u32 s[22:23], v1, s[sgprSizesFree+1]      // coord1 < size1
s_and_b64 s[26:27], s[20:21], s[22:23]             // in0 && in1
_v_add_co_u32 v16, vcc, v2, v8                     // addrVgpr = D + index*bytes (lo)
_v_addc_co_u32 v17, vcc, v3, v9, vcc               // addrVgpr = D + index*bytes (hi)
v_accvgpr_read_b32 v[vgprValuC+14], acc18 // copy acc to vreg[40]
v_accvgpr_read_b32 v[vgprValuC+15], acc50 // copy acc to vreg[41]
v_accvgpr_read_b32 v[vgprValuC+18], acc22 // copy acc to vreg[42]
v_accvgpr_read_b32 v[vgprValuC+19], acc54 // copy acc to vreg[43]
s_nop 1                                            // 2 wait states required before reading vgpr

/* rC *= alpha batchElements=[(2, 0, 2, 0), (2, 0, 2, 1)] */
v_mov_b32 v11, v[vgprValuC+14]                     // store Cr
v_mul_f32 v[vgprValuC+14], s[sgprAlpha], v[vgprValuC+14] // *= alpha ( Cr = Ar * Cr)
_v_mac_f32 v[vgprValuC+14], -s[sgprAlpha+1], v[vgprValuC+15] // *= alpha ( Cr += -Ai * Ci )
v_mul_f32 v[vgprValuC+15], s[sgprAlpha], v[vgprValuC+15] // *= alpha ( Ci = Ar * Ci)
_v_mac_f32 v[vgprValuC+15], s[sgprAlpha+1], v11    // *= alpha ( Ci += Ai * Cr_backup )
v_mov_b32 v11, v[vgprValuC+18]                     // store Cr
v_mul_f32 v[vgprValuC+18], s[sgprAlpha], v[vgprValuC+18] // *= alpha ( Cr = Ar * Cr)
_v_mac_f32 v[vgprValuC+18], -s[sgprAlpha+1], v[vgprValuC+19] // *= alpha ( Cr += -Ai * Ci )
v_mul_f32 v[vgprValuC+19], s[sgprAlpha], v[vgprValuC+19] // *= alpha ( Ci = Ar * Ci)
_v_mac_f32 v[vgprValuC+19], s[sgprAlpha+1], v11    // *= alpha ( Ci += Ai * Cr_backup )

/* apply mask, calc new C and issue writes */
s_mov_b64 exec, s[24:25]                           // sgprs -> exec
_global_store_b64 v[12:13], v[14:15], off          // store D
s_mov_b64 exec, s[26:27]                           // sgprs -> exec
_global_store_b64 v[16:17], v[18:19], off          // store D
s_mov_b64 exec, -1                                 // full mask -> exec
s_nop 0                                            // 1 wait state required when next inst writes vgprs held by previous dwordx4 store inst
/* optSingleColVgpr=0 optSharedColVgpr=0 optSGPRUsage=None optSrdIncForRow=0 */

/******************************************/
/* Global Write Alpha Edge Batch #11 (d1,d0,vc1,vc0) = */
/*    (2,0,3,0:vw1); (2,0,3,1:vw1)        */
/******************************************/

/* calc coords, apply mask, and issue loads (if necessary) */
/* (d1,vc1,d0,vc0)=(2,3,0,0) */
_v_add_co_u32 v1, vcc, v1, 1                       // coord1.1: coord1Vgpr += d1*sg1*VW + vc1
GLOBAL_OFFSET_D 12, 0, 1, 8
v_mov_b32 v8, v12                                  // temp store offset 0
v_mov_b32 v9, v13                                  // temp store offset 1
v_cmp_lt_u32 s[20:21], v0, s[sgprSizesFree+0]      // coord0 < size0
v_cmp_lt_u32 s[22:23], v1, s[sgprSizesFree+1]      // coord1 < size1
s_and_b64 s[24:25], s[20:21], s[22:23]             // in0 && in1
_v_add_co_u32 v12, vcc, v2, v8                     // addrVgpr = D + index*bytes (lo)
_v_addc_co_u32 v13, vcc, v3, v9, vcc               // addrVgpr = D + index*bytes (hi)
/* (d1,vc1,d0,vc0)=(2,3,0,1) */
_v_add_co_u32 v6, vcc, v0, 1                       // coord0.1: coord0 += d0*sg0*VW + vc0
GLOBAL_OFFSET_D 16, 6, 1, 8
v_mov_b32 v8, v16                                  // temp store offset 0
v_mov_b32 v9, v17                                  // temp store offset 1
v_cmp_lt_u32 s[20:21], v6, s[sgprSizesFree+0]      // coord0 < size0
v_cmp_lt_u32 s[22:23], v1, s[sgprSizesFree+1]      // coord1 < size1
s_and_b64 s[26:27], s[20:21], s[22:23]             // in0 && in1
_v_add_co_u32 v16, vcc, v2, v8                     // addrVgpr = D + index*bytes (lo)
_v_addc_co_u32 v17, vcc, v3, v9, vcc               // addrVgpr = D + index*bytes (hi)
v_accvgpr_read_b32 v[vgprValuC+14], acc19 // copy acc to vreg[44]
v_accvgpr_read_b32 v[vgprValuC+15], acc51 // copy acc to vreg[45]
v_accvgpr_read_b32 v[vgprValuC+18], acc23 // copy acc to vreg[46]
v_accvgpr_read_b32 v[vgprValuC+19], acc55 // copy acc to vreg[47]
s_nop 1                                            // 2 wait states required before reading vgpr

/* rC *= alpha batchElements=[(2, 0, 3, 0), (2, 0, 3, 1)] */
v_mov_b32 v11, v[vgprValuC+14]                     // store Cr
v_mul_f32 v[vgprValuC+14], s[sgprAlpha], v[vgprValuC+14] // *= alpha ( Cr = Ar * Cr)
_v_mac_f32 v[vgprValuC+14], -s[sgprAlpha+1], v[vgprValuC+15] // *= alpha ( Cr += -Ai * Ci )
v_mul_f32 v[vgprValuC+15], s[sgprAlpha], v[vgprValuC+15] // *= alpha ( Ci = Ar * Ci)
_v_mac_f32 v[vgprValuC+15], s[sgprAlpha+1], v11    // *= alpha ( Ci += Ai * Cr_backup )
v_mov_b32 v11, v[vgprValuC+18]                     // store Cr
v_mul_f32 v[vgprValuC+18], s[sgprAlpha], v[vgprValuC+18] // *= alpha ( Cr = Ar * Cr)
_v_mac_f32 v[vgprValuC+18], -s[sgprAlpha+1], v[vgprValuC+19] // *= alpha ( Cr += -Ai * Ci )
v_mul_f32 v[vgprValuC+19], s[sgprAlpha], v[vgprValuC+19] // *= alpha ( Ci = Ar * Ci)
_v_mac_f32 v[vgprValuC+19], s[sgprAlpha+1], v11    // *= alpha ( Ci += Ai * Cr_backup )

/* apply mask, calc new C and issue writes */
s_mov_b64 exec, s[24:25]                           // sgprs -> exec
_global_store_b64 v[12:13], v[14:15], off          // store D
s_mov_b64 exec, s[26:27]                           // sgprs -> exec
_global_store_b64 v[16:17], v[18:19], off          // store D
s_mov_b64 exec, -1                                 // full mask -> exec
s_nop 0                                            // 1 wait state required when next inst writes vgprs held by previous dwordx4 store inst
/* optSingleColVgpr=0 optSharedColVgpr=0 optSGPRUsage=None optSrdIncForRow=0 */

/******************************************/
/* Global Write Alpha Edge Batch #12 (d1,d0,vc1,vc0) = */
/*    (3,0,0,0:vw1); (3,0,0,1:vw1)        */
/******************************************/

/* calc coords, apply mask, and issue loads (if necessary) */
/* (d1,vc1,d0,vc0)=(3,0,0,0) */
_v_add_co_u32 v1, vcc, v1, 13                      // coord1.1: coord1Vgpr += d1*sg1*VW + vc1
GLOBAL_OFFSET_D 12, 0, 1, 8
v_mov_b32 v8, v12                                  // temp store offset 0
v_mov_b32 v9, v13                                  // temp store offset 1
v_cmp_lt_u32 s[20:21], v0, s[sgprSizesFree+0]      // coord0 < size0
v_cmp_lt_u32 s[22:23], v1, s[sgprSizesFree+1]      // coord1 < size1
s_and_b64 s[24:25], s[20:21], s[22:23]             // in0 && in1
_v_add_co_u32 v12, vcc, v2, v8                     // addrVgpr = D + index*bytes (lo)
_v_addc_co_u32 v13, vcc, v3, v9, vcc               // addrVgpr = D + index*bytes (hi)
/* (d1,vc1,d0,vc0)=(3,0,0,1) */
_v_add_co_u32 v6, vcc, v0, 1                       // coord0.1: coord0 += d0*sg0*VW + vc0
GLOBAL_OFFSET_D 16, 6, 1, 8
v_mov_b32 v8, v16                                  // temp store offset 0
v_mov_b32 v9, v17                                  // temp store offset 1
v_cmp_lt_u32 s[20:21], v6, s[sgprSizesFree+0]      // coord0 < size0
v_cmp_lt_u32 s[22:23], v1, s[sgprSizesFree+1]      // coord1 < size1
s_and_b64 s[26:27], s[20:21], s[22:23]             // in0 && in1
_v_add_co_u32 v16, vcc, v2, v8                     // addrVgpr = D + index*bytes (lo)
_v_addc_co_u32 v17, vcc, v3, v9, vcc               // addrVgpr = D + index*bytes (hi)
v_accvgpr_read_b32 v[vgprValuC+14], acc24 // copy acc to vreg[48]
v_accvgpr_read_b32 v[vgprValuC+15], acc56 // copy acc to vreg[49]
v_accvgpr_read_b32 v[vgprValuC+18], acc28 // copy acc to vreg[50]
v_accvgpr_read_b32 v[vgprValuC+19], acc60 // copy acc to vreg[51]
s_nop 1                                            // 2 wait states required before reading vgpr

/* rC *= alpha batchElements=[(3, 0, 0, 0), (3, 0, 0, 1)] */
v_mov_b32 v11, v[vgprValuC+14]                     // store Cr
v_mul_f32 v[vgprValuC+14], s[sgprAlpha], v[vgprValuC+14] // *= alpha ( Cr = Ar * Cr)
_v_mac_f32 v[vgprValuC+14], -s[sgprAlpha+1], v[vgprValuC+15] // *= alpha ( Cr += -Ai * Ci )
v_mul_f32 v[vgprValuC+15], s[sgprAlpha], v[vgprValuC+15] // *= alpha ( Ci = Ar * Ci)
_v_mac_f32 v[vgprValuC+15], s[sgprAlpha+1], v11    // *= alpha ( Ci += Ai * Cr_backup )
v_mov_b32 v11, v[vgprValuC+18]                     // store Cr
v_mul_f32 v[vgprValuC+18], s[sgprAlpha], v[vgprValuC+18] // *= alpha ( Cr = Ar * Cr)
_v_mac_f32 v[vgprValuC+18], -s[sgprAlpha+1], v[vgprValuC+19] // *= alpha ( Cr += -Ai * Ci )
v_mul_f32 v[vgprValuC+19], s[sgprAlpha], v[vgprValuC+19] // *= alpha ( Ci = Ar * Ci)
_v_mac_f32 v[vgprValuC+19], s[sgprAlpha+1], v11    // *= alpha ( Ci += Ai * Cr_backup )

/* apply mask, calc new C and issue writes */
s_mov_b64 exec, s[24:25]                           // sgprs -> exec
_global_store_b64 v[12:13], v[14:15], off          // store D
s_mov_b64 exec, s[26:27]                           // sgprs -> exec
_global_store_b64 v[16:17], v[18:19], off          // store D
s_mov_b64 exec, -1                                 // full mask -> exec
s_nop 0                                            // 1 wait state required when next inst writes vgprs held by previous dwordx4 store inst
/* optSingleColVgpr=0 optSharedColVgpr=0 optSGPRUsage=None optSrdIncForRow=0 */

/******************************************/
/* Global Write Alpha Edge Batch #13 (d1,d0,vc1,vc0) = */
/*    (3,0,1,0:vw1); (3,0,1,1:vw1)        */
/******************************************/

/* calc coords, apply mask, and issue loads (if necessary) */
/* (d1,vc1,d0,vc0)=(3,1,0,0) */
_v_add_co_u32 v1, vcc, v1, 1                       // coord1.1: coord1Vgpr += d1*sg1*VW + vc1
GLOBAL_OFFSET_D 12, 0, 1, 8
v_mov_b32 v8, v12                                  // temp store offset 0
v_mov_b32 v9, v13                                  // temp store offset 1
v_cmp_lt_u32 s[20:21], v0, s[sgprSizesFree+0]      // coord0 < size0
v_cmp_lt_u32 s[22:23], v1, s[sgprSizesFree+1]      // coord1 < size1
s_and_b64 s[24:25], s[20:21], s[22:23]             // in0 && in1
_v_add_co_u32 v12, vcc, v2, v8                     // addrVgpr = D + index*bytes (lo)
_v_addc_co_u32 v13, vcc, v3, v9, vcc               // addrVgpr = D + index*bytes (hi)
/* (d1,vc1,d0,vc0)=(3,1,0,1) */
_v_add_co_u32 v6, vcc, v0, 1                       // coord0.1: coord0 += d0*sg0*VW + vc0
GLOBAL_OFFSET_D 16, 6, 1, 8
v_mov_b32 v8, v16                                  // temp store offset 0
v_mov_b32 v9, v17                                  // temp store offset 1
v_cmp_lt_u32 s[20:21], v6, s[sgprSizesFree+0]      // coord0 < size0
v_cmp_lt_u32 s[22:23], v1, s[sgprSizesFree+1]      // coord1 < size1
s_and_b64 s[26:27], s[20:21], s[22:23]             // in0 && in1
_v_add_co_u32 v16, vcc, v2, v8                     // addrVgpr = D + index*bytes (lo)
_v_addc_co_u32 v17, vcc, v3, v9, vcc               // addrVgpr = D + index*bytes (hi)
v_accvgpr_read_b32 v[vgprValuC+14], acc25 // copy acc to vreg[52]
v_accvgpr_read_b32 v[vgprValuC+15], acc57 // copy acc to vreg[53]
v_accvgpr_read_b32 v[vgprValuC+18], acc29 // copy acc to vreg[54]
v_accvgpr_read_b32 v[vgprValuC+19], acc61 // copy acc to vreg[55]
s_nop 1                                            // 2 wait states required before reading vgpr

/* rC *= alpha batchElements=[(3, 0, 1, 0), (3, 0, 1, 1)] */
v_mov_b32 v11, v[vgprValuC+14]                     // store Cr
v_mul_f32 v[vgprValuC+14], s[sgprAlpha], v[vgprValuC+14] // *= alpha ( Cr = Ar * Cr)
_v_mac_f32 v[vgprValuC+14], -s[sgprAlpha+1], v[vgprValuC+15] // *= alpha ( Cr += -Ai * Ci )
v_mul_f32 v[vgprValuC+15], s[sgprAlpha], v[vgprValuC+15] // *= alpha ( Ci = Ar * Ci)
_v_mac_f32 v[vgprValuC+15], s[sgprAlpha+1], v11    // *= alpha ( Ci += Ai * Cr_backup )
v_mov_b32 v11, v[vgprValuC+18]                     // store Cr
v_mul_f32 v[vgprValuC+18], s[sgprAlpha], v[vgprValuC+18] // *= alpha ( Cr = Ar * Cr)
_v_mac_f32 v[vgprValuC+18], -s[sgprAlpha+1], v[vgprValuC+19] // *= alpha ( Cr += -Ai * Ci )
v_mul_f32 v[vgprValuC+19], s[sgprAlpha], v[vgprValuC+19] // *= alpha ( Ci = Ar * Ci)
_v_mac_f32 v[vgprValuC+19], s[sgprAlpha+1], v11    // *= alpha ( Ci += Ai * Cr_backup )

/* apply mask, calc new C and issue writes */
s_mov_b64 exec, s[24:25]                           // sgprs -> exec
_global_store_b64 v[12:13], v[14:15], off          // store D
s_mov_b64 exec, s[26:27]                           // sgprs -> exec
_global_store_b64 v[16:17], v[18:19], off          // store D
s_mov_b64 exec, -1                                 // full mask -> exec
s_nop 0                                            // 1 wait state required when next inst writes vgprs held by previous dwordx4 store inst
/* optSingleColVgpr=0 optSharedColVgpr=0 optSGPRUsage=None optSrdIncForRow=0 */

/******************************************/
/* Global Write Alpha Edge Batch #14 (d1,d0,vc1,vc0) = */
/*    (3,0,2,0:vw1); (3,0,2,1:vw1)        */
/******************************************/

/* calc coords, apply mask, and issue loads (if necessary) */
/* (d1,vc1,d0,vc0)=(3,2,0,0) */
_v_add_co_u32 v1, vcc, v1, 1                       // coord1.1: coord1Vgpr += d1*sg1*VW + vc1
GLOBAL_OFFSET_D 12, 0, 1, 8
v_mov_b32 v8, v12                                  // temp store offset 0
v_mov_b32 v9, v13                                  // temp store offset 1
v_cmp_lt_u32 s[20:21], v0, s[sgprSizesFree+0]      // coord0 < size0
v_cmp_lt_u32 s[22:23], v1, s[sgprSizesFree+1]      // coord1 < size1
s_and_b64 s[24:25], s[20:21], s[22:23]             // in0 && in1
_v_add_co_u32 v12, vcc, v2, v8                     // addrVgpr = D + index*bytes (lo)
_v_addc_co_u32 v13, vcc, v3, v9, vcc               // addrVgpr = D + index*bytes (hi)
/* (d1,vc1,d0,vc0)=(3,2,0,1) */
_v_add_co_u32 v6, vcc, v0, 1                       // coord0.1: coord0 += d0*sg0*VW + vc0
GLOBAL_OFFSET_D 16, 6, 1, 8
v_mov_b32 v8, v16                                  // temp store offset 0
v_mov_b32 v9, v17                                  // temp store offset 1
v_cmp_lt_u32 s[20:21], v6, s[sgprSizesFree+0]      // coord0 < size0
v_cmp_lt_u32 s[22:23], v1, s[sgprSizesFree+1]      // coord1 < size1
s_and_b64 s[26:27], s[20:21], s[22:23]             // in0 && in1
_v_add_co_u32 v16, vcc, v2, v8                     // addrVgpr = D + index*bytes (lo)
_v_addc_co_u32 v17, vcc, v3, v9, vcc               // addrVgpr = D + index*bytes (hi)
v_accvgpr_read_b32 v[vgprValuC+14], acc26 // copy acc to vreg[56]
v_accvgpr_read_b32 v[vgprValuC+15], acc58 // copy acc to vreg[57]
v_accvgpr_read_b32 v[vgprValuC+18], acc30 // copy acc to vreg[58]
v_accvgpr_read_b32 v[vgprValuC+19], acc62 // copy acc to vreg[59]
s_nop 1                                            // 2 wait states required before reading vgpr

/* rC *= alpha batchElements=[(3, 0, 2, 0), (3, 0, 2, 1)] */
v_mov_b32 v11, v[vgprValuC+14]                     // store Cr
v_mul_f32 v[vgprValuC+14], s[sgprAlpha], v[vgprValuC+14] // *= alpha ( Cr = Ar * Cr)
_v_mac_f32 v[vgprValuC+14], -s[sgprAlpha+1], v[vgprValuC+15] // *= alpha ( Cr += -Ai * Ci )
v_mul_f32 v[vgprValuC+15], s[sgprAlpha], v[vgprValuC+15] // *= alpha ( Ci = Ar * Ci)
_v_mac_f32 v[vgprValuC+15], s[sgprAlpha+1], v11    // *= alpha ( Ci += Ai * Cr_backup )
v_mov_b32 v11, v[vgprValuC+18]                     // store Cr
v_mul_f32 v[vgprValuC+18], s[sgprAlpha], v[vgprValuC+18] // *= alpha ( Cr = Ar * Cr)
_v_mac_f32 v[vgprValuC+18], -s[sgprAlpha+1], v[vgprValuC+19] // *= alpha ( Cr += -Ai * Ci )
v_mul_f32 v[vgprValuC+19], s[sgprAlpha], v[vgprValuC+19] // *= alpha ( Ci = Ar * Ci)
_v_mac_f32 v[vgprValuC+19], s[sgprAlpha+1], v11    // *= alpha ( Ci += Ai * Cr_backup )

/* apply mask, calc new C and issue writes */
s_mov_b64 exec, s[24:25]                           // sgprs -> exec
_global_store_b64 v[12:13], v[14:15], off          // store D
s_mov_b64 exec, s[26:27]                           // sgprs -> exec
_global_store_b64 v[16:17], v[18:19], off          // store D
s_mov_b64 exec, -1                                 // full mask -> exec
s_nop 0                                            // 1 wait state required when next inst writes vgprs held by previous dwordx4 store inst
/* optSingleColVgpr=0 optSharedColVgpr=0 optSGPRUsage=None optSrdIncForRow=0 */

/******************************************/
/* Global Write Alpha Edge Batch #15 (d1,d0,vc1,vc0) = */
/*    (3,0,3,0:vw1); (3,0,3,1:vw1)        */
/******************************************/

/* calc coords, apply mask, and issue loads (if necessary) */
/* (d1,vc1,d0,vc0)=(3,3,0,0) */
_v_add_co_u32 v1, vcc, v1, 1                       // coord1.1: coord1Vgpr += d1*sg1*VW + vc1
GLOBAL_OFFSET_D 12, 0, 1, 8
v_mov_b32 v8, v12                                  // temp store offset 0
v_mov_b32 v9, v13                                  // temp store offset 1
v_cmp_lt_u32 s[20:21], v0, s[sgprSizesFree+0]      // coord0 < size0
v_cmp_lt_u32 s[22:23], v1, s[sgprSizesFree+1]      // coord1 < size1
s_and_b64 s[24:25], s[20:21], s[22:23]             // in0 && in1
_v_add_co_u32 v12, vcc, v2, v8                     // addrVgpr = D + index*bytes (lo)
_v_addc_co_u32 v13, vcc, v3, v9, vcc               // addrVgpr = D + index*bytes (hi)
/* (d1,vc1,d0,vc0)=(3,3,0,1) */
_v_add_co_u32 v6, vcc, v0, 1                       // coord0.1: coord0 += d0*sg0*VW + vc0
GLOBAL_OFFSET_D 16, 6, 1, 8
v_mov_b32 v8, v16                                  // temp store offset 0
v_mov_b32 v9, v17                                  // temp store offset 1
v_cmp_lt_u32 s[20:21], v6, s[sgprSizesFree+0]      // coord0 < size0
v_cmp_lt_u32 s[22:23], v1, s[sgprSizesFree+1]      // coord1 < size1
s_and_b64 s[26:27], s[20:21], s[22:23]             // in0 && in1
_v_add_co_u32 v16, vcc, v2, v8                     // addrVgpr = D + index*bytes (lo)
_v_addc_co_u32 v17, vcc, v3, v9, vcc               // addrVgpr = D + index*bytes (hi)
v_accvgpr_read_b32 v[vgprValuC+14], acc27 // copy acc to vreg[60]
v_accvgpr_read_b32 v[vgprValuC+15], acc59 // copy acc to vreg[61]
v_accvgpr_read_b32 v[vgprValuC+18], acc31 // copy acc to vreg[62]
v_accvgpr_read_b32 v[vgprValuC+19], acc63 // copy acc to vreg[63]
s_nop 1                                            // 2 wait states required before reading vgpr

/* rC *= alpha batchElements=[(3, 0, 3, 0), (3, 0, 3, 1)] */
v_mov_b32 v11, v[vgprValuC+14]                     // store Cr
v_mul_f32 v[vgprValuC+14], s[sgprAlpha], v[vgprValuC+14] // *= alpha ( Cr = Ar * Cr)
_v_mac_f32 v[vgprValuC+14], -s[sgprAlpha+1], v[vgprValuC+15] // *= alpha ( Cr += -Ai * Ci )
v_mul_f32 v[vgprValuC+15], s[sgprAlpha], v[vgprValuC+15] // *= alpha ( Ci = Ar * Ci)
_v_mac_f32 v[vgprValuC+15], s[sgprAlpha+1], v11    // *= alpha ( Ci += Ai * Cr_backup )
v_mov_b32 v11, v[vgprValuC+18]                     // store Cr
v_mul_f32 v[vgprValuC+18], s[sgprAlpha], v[vgprValuC+18] // *= alpha ( Cr = Ar * Cr)
_v_mac_f32 v[vgprValuC+18], -s[sgprAlpha+1], v[vgprValuC+19] // *= alpha ( Cr += -Ai * Ci )
v_mul_f32 v[vgprValuC+19], s[sgprAlpha], v[vgprValuC+19] // *= alpha ( Ci = Ar * Ci)
_v_mac_f32 v[vgprValuC+19], s[sgprAlpha+1], v11    // *= alpha ( Ci += Ai * Cr_backup )

/* apply mask, calc new C and issue writes */
s_mov_b64 exec, s[24:25]                           // sgprs -> exec
_global_store_b64 v[12:13], v[14:15], off          // store D
s_mov_b64 exec, s[26:27]                           // sgprs -> exec
_global_store_b64 v[16:17], v[18:19], off          // store D
s_mov_b64 exec, -1                                 // full mask -> exec
s_nop 0                                            // 1 wait state required when next inst writes vgprs held by previous dwordx4 store inst
s_branch label_GW_End_60                           // jump to end
GW_Beta_61:
s_and_b32 s20, 127, s[sgprSizeI]                   // s20 = s[sgprSizeI] % 128
s_add_u32 s21, -0x1, s[sgprNumWorkGroups0]         // 
s_cmp_ge_u32 s[sgprWorkGroup0], s21                // wg0 >= nwg0-1 ?
s_cselect_b32 s20, s20, 0                          // set rMT0
s_cmpk_gt_u32 s20, 0x0                             // rMT0 > 0
s_cbranch_scc1 GW_B1_E1_59                         // jump if edges required
s_and_b32 s20, 63, s[sgprSizeJ]                    // s20 = s[sgprSizeJ] % 64
s_add_u32 s21, -0x1, s[sgprNumWorkGroups1]         // 
s_cmp_ge_u32 s[sgprWorkGroup1], s21                // wg1 >= nwg1-1
s_cselect_b32 s20, s20, 0                          // set rMT1
s_cmpk_gt_u32 s20, 0x0                             // rMT1 > 0
s_cbranch_scc1 GW_B1_E1_59                         // jump if edges required
GW_B1_E0_56:

/* edge=0, allocate 8 sgpr. perBatchTmpS=4 perBatchMaskS=0 perElementMaskS=2 elementsPerBatch=2 */
/* optSingleColVgpr=0 optSharedColVgpr=0 optSGPRUsage=None optSrdIncForRow=0 */

/******************************************/
/* Global Write Alpha Beta Batch #0 (d1,d0,vc1,vc0) = */
/*    (0,0,0,0:vw2); (0,0,1,0:vw2)        */
/******************************************/

/* calc coords, apply mask, and issue loads (if necessary) */
/* (d1,vc1,d0,vc0)=(0,0,0,0) */
GLOBAL_OFFSET_C 12, 0, 1, 8
v_mov_b32 v8, v12                                  // temp store offset 0
v_mov_b32 v9, v13                                  // temp store offset 1
_v_add_co_u32 v12, vcc, v4, v8                     // addrVgpr = C + index*bytes (lo)
_v_addc_co_u32 v13, vcc, v5, v9, vcc               // addrVgpr = C + index*bytes (hi)
_global_load_b128 v[16:19], v[12:13], off, offset:0 // load C for beta calc
GLOBAL_OFFSET_D 12, 0, 1, 8
v_mov_b32 v8, v12                                  // temp store offset 0
v_mov_b32 v9, v13                                  // temp store offset 1
_v_add_co_u32 v12, vcc, v2, v8                     // addrVgpr = D + index*bytes (lo)
_v_addc_co_u32 v13, vcc, v3, v9, vcc               // addrVgpr = D + index*bytes (hi)
/* (d1,vc1,d0,vc0)=(0,1,0,0) */
_v_add_co_u32 v1, vcc, v1, 1                       // coord1.1: coord1Vgpr += d1*sg1*VW + vc1
GLOBAL_OFFSET_C 14, 0, 1, 8
v_mov_b32 v8, v14                                  // temp store offset 0
v_mov_b32 v9, v15                                  // temp store offset 1
_v_add_co_u32 v14, vcc, v4, v8                     // addrVgpr = C + index*bytes (lo)
_v_addc_co_u32 v15, vcc, v5, v9, vcc               // addrVgpr = C + index*bytes (hi)
_global_load_b128 v[24:27], v[14:15], off, offset:0 // load C for beta calc
GLOBAL_OFFSET_D 14, 0, 1, 8
v_mov_b32 v8, v14                                  // temp store offset 0
v_mov_b32 v9, v15                                  // temp store offset 1
_v_add_co_u32 v14, vcc, v2, v8                     // addrVgpr = D + index*bytes (lo)
_v_addc_co_u32 v15, vcc, v3, v9, vcc               // addrVgpr = D + index*bytes (hi)
v_accvgpr_read_b32 v[vgprValuC+20], acc0 // copy acc to vreg[0]
v_accvgpr_read_b32 v[vgprValuC+21], acc32 // copy acc to vreg[1]
v_accvgpr_read_b32 v[vgprValuC+22], acc4 // copy acc to vreg[2]
v_accvgpr_read_b32 v[vgprValuC+23], acc36 // copy acc to vreg[3]
v_accvgpr_read_b32 v[vgprValuC+28], acc1 // copy acc to vreg[4]
v_accvgpr_read_b32 v[vgprValuC+29], acc33 // copy acc to vreg[5]
v_accvgpr_read_b32 v[vgprValuC+30], acc5 // copy acc to vreg[6]
v_accvgpr_read_b32 v[vgprValuC+31], acc37 // copy acc to vreg[7]
s_nop 1                                            // 2 wait states required before reading vgpr

/* rC *= alpha batchElements=[(0, 0, 0, 0), (0, 0, 1, 0)] */
v_mov_b32 v11, v[vgprValuC+20]                     // store Cr
v_mul_f32 v[vgprValuC+20], s[sgprAlpha], v[vgprValuC+20] // *= alpha ( Cr = Ar * Cr)
_v_mac_f32 v[vgprValuC+20], -s[sgprAlpha+1], v[vgprValuC+21] // *= alpha ( Cr += -Ai * Ci )
v_mul_f32 v[vgprValuC+21], s[sgprAlpha], v[vgprValuC+21] // *= alpha ( Ci = Ar * Ci)
_v_mac_f32 v[vgprValuC+21], s[sgprAlpha+1], v11    // *= alpha ( Ci += Ai * Cr_backup )
v_mov_b32 v11, v[vgprValuC+22]                     // store Cr
v_mul_f32 v[vgprValuC+22], s[sgprAlpha], v[vgprValuC+22] // *= alpha ( Cr = Ar * Cr)
_v_mac_f32 v[vgprValuC+22], -s[sgprAlpha+1], v[vgprValuC+23] // *= alpha ( Cr += -Ai * Ci )
v_mul_f32 v[vgprValuC+23], s[sgprAlpha], v[vgprValuC+23] // *= alpha ( Ci = Ar * Ci)
_v_mac_f32 v[vgprValuC+23], s[sgprAlpha+1], v11    // *= alpha ( Ci += Ai * Cr_backup )
v_mov_b32 v11, v[vgprValuC+28]                     // store Cr
v_mul_f32 v[vgprValuC+28], s[sgprAlpha], v[vgprValuC+28] // *= alpha ( Cr = Ar * Cr)
_v_mac_f32 v[vgprValuC+28], -s[sgprAlpha+1], v[vgprValuC+29] // *= alpha ( Cr += -Ai * Ci )
v_mul_f32 v[vgprValuC+29], s[sgprAlpha], v[vgprValuC+29] // *= alpha ( Ci = Ar * Ci)
_v_mac_f32 v[vgprValuC+29], s[sgprAlpha+1], v11    // *= alpha ( Ci += Ai * Cr_backup )
v_mov_b32 v11, v[vgprValuC+30]                     // store Cr
v_mul_f32 v[vgprValuC+30], s[sgprAlpha], v[vgprValuC+30] // *= alpha ( Cr = Ar * Cr)
_v_mac_f32 v[vgprValuC+30], -s[sgprAlpha+1], v[vgprValuC+31] // *= alpha ( Cr += -Ai * Ci )
v_mul_f32 v[vgprValuC+31], s[sgprAlpha], v[vgprValuC+31] // *= alpha ( Ci = Ar * Ci)
_v_mac_f32 v[vgprValuC+31], s[sgprAlpha+1], v11    // *= alpha ( Ci += Ai * Cr_backup )
s_waitcnt vmcnt(0)                                 // wait C

/* apply mask, calc new C and issue writes */
_v_mac_f32 v[vgprValuC+20], v16, s[sgprBeta]       // finalSum Cr += old Cr * Br
_v_mac_f32 v[vgprValuC+20], v17, -s[sgprBeta+1]    // finalSum Cr += old Ci * -Bi
_v_mac_f32 v[vgprValuC+21], v17, s[sgprBeta]       // finalSum Ci += old Ci * Br
_v_mac_f32 v[vgprValuC+21], v16, s[sgprBeta+1]     // finalSum Ci += old Cr * Bi
_v_mac_f32 v[vgprValuC+22], v18, s[sgprBeta]       // finalSum Cr += old Cr * Br
_v_mac_f32 v[vgprValuC+22], v19, -s[sgprBeta+1]    // finalSum Cr += old Ci * -Bi
_v_mac_f32 v[vgprValuC+23], v19, s[sgprBeta]       // finalSum Ci += old Ci * Br
_v_mac_f32 v[vgprValuC+23], v18, s[sgprBeta+1]     // finalSum Ci += old Cr * Bi
_global_store_b128 v[12:13], v[20:23], off         // store D
_v_mac_f32 v[vgprValuC+28], v24, s[sgprBeta]       // finalSum Cr += old Cr * Br
_v_mac_f32 v[vgprValuC+28], v25, -s[sgprBeta+1]    // finalSum Cr += old Ci * -Bi
_v_mac_f32 v[vgprValuC+29], v25, s[sgprBeta]       // finalSum Ci += old Ci * Br
_v_mac_f32 v[vgprValuC+29], v24, s[sgprBeta+1]     // finalSum Ci += old Cr * Bi
_v_mac_f32 v[vgprValuC+30], v26, s[sgprBeta]       // finalSum Cr += old Cr * Br
_v_mac_f32 v[vgprValuC+30], v27, -s[sgprBeta+1]    // finalSum Cr += old Ci * -Bi
_v_mac_f32 v[vgprValuC+31], v27, s[sgprBeta]       // finalSum Ci += old Ci * Br
_v_mac_f32 v[vgprValuC+31], v26, s[sgprBeta+1]     // finalSum Ci += old Cr * Bi
_global_store_b128 v[14:15], v[28:31], off         // store D
s_nop 0                                            // 1 wait state required when next inst writes vgprs held by previous dwordx4 store inst
/* optSingleColVgpr=0 optSharedColVgpr=0 optSGPRUsage=None optSrdIncForRow=0 */

/******************************************/
/* Global Write Alpha Beta Batch #1 (d1,d0,vc1,vc0) = */
/*    (0,0,2,0:vw2); (0,0,3,0:vw2)        */
/******************************************/

/* calc coords, apply mask, and issue loads (if necessary) */
/* (d1,vc1,d0,vc0)=(0,2,0,0) */
_v_add_co_u32 v1, vcc, v1, 1                       // coord1.1: coord1Vgpr += d1*sg1*VW + vc1
GLOBAL_OFFSET_C 12, 0, 1, 8
v_mov_b32 v8, v12                                  // temp store offset 0
v_mov_b32 v9, v13                                  // temp store offset 1
_v_add_co_u32 v12, vcc, v4, v8                     // addrVgpr = C + index*bytes (lo)
_v_addc_co_u32 v13, vcc, v5, v9, vcc               // addrVgpr = C + index*bytes (hi)
_global_load_b128 v[16:19], v[12:13], off, offset:0 // load C for beta calc
GLOBAL_OFFSET_D 12, 0, 1, 8
v_mov_b32 v8, v12                                  // temp store offset 0
v_mov_b32 v9, v13                                  // temp store offset 1
_v_add_co_u32 v12, vcc, v2, v8                     // addrVgpr = D + index*bytes (lo)
_v_addc_co_u32 v13, vcc, v3, v9, vcc               // addrVgpr = D + index*bytes (hi)
/* (d1,vc1,d0,vc0)=(0,3,0,0) */
_v_add_co_u32 v1, vcc, v1, 1                       // coord1.1: coord1Vgpr += d1*sg1*VW + vc1
GLOBAL_OFFSET_C 14, 0, 1, 8
v_mov_b32 v8, v14                                  // temp store offset 0
v_mov_b32 v9, v15                                  // temp store offset 1
_v_add_co_u32 v14, vcc, v4, v8                     // addrVgpr = C + index*bytes (lo)
_v_addc_co_u32 v15, vcc, v5, v9, vcc               // addrVgpr = C + index*bytes (hi)
_global_load_b128 v[24:27], v[14:15], off, offset:0 // load C for beta calc
GLOBAL_OFFSET_D 14, 0, 1, 8
v_mov_b32 v8, v14                                  // temp store offset 0
v_mov_b32 v9, v15                                  // temp store offset 1
_v_add_co_u32 v14, vcc, v2, v8                     // addrVgpr = D + index*bytes (lo)
_v_addc_co_u32 v15, vcc, v3, v9, vcc               // addrVgpr = D + index*bytes (hi)
v_accvgpr_read_b32 v[vgprValuC+20], acc2 // copy acc to vreg[8]
v_accvgpr_read_b32 v[vgprValuC+21], acc34 // copy acc to vreg[9]
v_accvgpr_read_b32 v[vgprValuC+22], acc6 // copy acc to vreg[10]
v_accvgpr_read_b32 v[vgprValuC+23], acc38 // copy acc to vreg[11]
v_accvgpr_read_b32 v[vgprValuC+28], acc3 // copy acc to vreg[12]
v_accvgpr_read_b32 v[vgprValuC+29], acc35 // copy acc to vreg[13]
v_accvgpr_read_b32 v[vgprValuC+30], acc7 // copy acc to vreg[14]
v_accvgpr_read_b32 v[vgprValuC+31], acc39 // copy acc to vreg[15]
s_nop 1                                            // 2 wait states required before reading vgpr

/* rC *= alpha batchElements=[(0, 0, 2, 0), (0, 0, 3, 0)] */
v_mov_b32 v11, v[vgprValuC+20]                     // store Cr
v_mul_f32 v[vgprValuC+20], s[sgprAlpha], v[vgprValuC+20] // *= alpha ( Cr = Ar * Cr)
_v_mac_f32 v[vgprValuC+20], -s[sgprAlpha+1], v[vgprValuC+21] // *= alpha ( Cr += -Ai * Ci )
v_mul_f32 v[vgprValuC+21], s[sgprAlpha], v[vgprValuC+21] // *= alpha ( Ci = Ar * Ci)
_v_mac_f32 v[vgprValuC+21], s[sgprAlpha+1], v11    // *= alpha ( Ci += Ai * Cr_backup )
v_mov_b32 v11, v[vgprValuC+22]                     // store Cr
v_mul_f32 v[vgprValuC+22], s[sgprAlpha], v[vgprValuC+22] // *= alpha ( Cr = Ar * Cr)
_v_mac_f32 v[vgprValuC+22], -s[sgprAlpha+1], v[vgprValuC+23] // *= alpha ( Cr += -Ai * Ci )
v_mul_f32 v[vgprValuC+23], s[sgprAlpha], v[vgprValuC+23] // *= alpha ( Ci = Ar * Ci)
_v_mac_f32 v[vgprValuC+23], s[sgprAlpha+1], v11    // *= alpha ( Ci += Ai * Cr_backup )
v_mov_b32 v11, v[vgprValuC+28]                     // store Cr
v_mul_f32 v[vgprValuC+28], s[sgprAlpha], v[vgprValuC+28] // *= alpha ( Cr = Ar * Cr)
_v_mac_f32 v[vgprValuC+28], -s[sgprAlpha+1], v[vgprValuC+29] // *= alpha ( Cr += -Ai * Ci )
v_mul_f32 v[vgprValuC+29], s[sgprAlpha], v[vgprValuC+29] // *= alpha ( Ci = Ar * Ci)
_v_mac_f32 v[vgprValuC+29], s[sgprAlpha+1], v11    // *= alpha ( Ci += Ai * Cr_backup )
v_mov_b32 v11, v[vgprValuC+30]                     // store Cr
v_mul_f32 v[vgprValuC+30], s[sgprAlpha], v[vgprValuC+30] // *= alpha ( Cr = Ar * Cr)
_v_mac_f32 v[vgprValuC+30], -s[sgprAlpha+1], v[vgprValuC+31] // *= alpha ( Cr += -Ai * Ci )
v_mul_f32 v[vgprValuC+31], s[sgprAlpha], v[vgprValuC+31] // *= alpha ( Ci = Ar * Ci)
_v_mac_f32 v[vgprValuC+31], s[sgprAlpha+1], v11    // *= alpha ( Ci += Ai * Cr_backup )
s_waitcnt vmcnt(0)                                 // wait C

/* apply mask, calc new C and issue writes */
_v_mac_f32 v[vgprValuC+20], v16, s[sgprBeta]       // finalSum Cr += old Cr * Br
_v_mac_f32 v[vgprValuC+20], v17, -s[sgprBeta+1]    // finalSum Cr += old Ci * -Bi
_v_mac_f32 v[vgprValuC+21], v17, s[sgprBeta]       // finalSum Ci += old Ci * Br
_v_mac_f32 v[vgprValuC+21], v16, s[sgprBeta+1]     // finalSum Ci += old Cr * Bi
_v_mac_f32 v[vgprValuC+22], v18, s[sgprBeta]       // finalSum Cr += old Cr * Br
_v_mac_f32 v[vgprValuC+22], v19, -s[sgprBeta+1]    // finalSum Cr += old Ci * -Bi
_v_mac_f32 v[vgprValuC+23], v19, s[sgprBeta]       // finalSum Ci += old Ci * Br
_v_mac_f32 v[vgprValuC+23], v18, s[sgprBeta+1]     // finalSum Ci += old Cr * Bi
_global_store_b128 v[12:13], v[20:23], off         // store D
_v_mac_f32 v[vgprValuC+28], v24, s[sgprBeta]       // finalSum Cr += old Cr * Br
_v_mac_f32 v[vgprValuC+28], v25, -s[sgprBeta+1]    // finalSum Cr += old Ci * -Bi
_v_mac_f32 v[vgprValuC+29], v25, s[sgprBeta]       // finalSum Ci += old Ci * Br
_v_mac_f32 v[vgprValuC+29], v24, s[sgprBeta+1]     // finalSum Ci += old Cr * Bi
_v_mac_f32 v[vgprValuC+30], v26, s[sgprBeta]       // finalSum Cr += old Cr * Br
_v_mac_f32 v[vgprValuC+30], v27, -s[sgprBeta+1]    // finalSum Cr += old Ci * -Bi
_v_mac_f32 v[vgprValuC+31], v27, s[sgprBeta]       // finalSum Ci += old Ci * Br
_v_mac_f32 v[vgprValuC+31], v26, s[sgprBeta+1]     // finalSum Ci += old Cr * Bi
_global_store_b128 v[14:15], v[28:31], off         // store D
s_nop 0                                            // 1 wait state required when next inst writes vgprs held by previous dwordx4 store inst
/* optSingleColVgpr=0 optSharedColVgpr=0 optSGPRUsage=None optSrdIncForRow=0 */

/******************************************/
/* Global Write Alpha Beta Batch #2 (d1,d0,vc1,vc0) = */
/*    (1,0,0,0:vw2); (1,0,1,0:vw2)        */
/******************************************/

/* calc coords, apply mask, and issue loads (if necessary) */
/* (d1,vc1,d0,vc0)=(1,0,0,0) */
_v_add_co_u32 v1, vcc, v1, 13                      // coord1.1: coord1Vgpr += d1*sg1*VW + vc1
GLOBAL_OFFSET_C 12, 0, 1, 8
v_mov_b32 v8, v12                                  // temp store offset 0
v_mov_b32 v9, v13                                  // temp store offset 1
_v_add_co_u32 v12, vcc, v4, v8                     // addrVgpr = C + index*bytes (lo)
_v_addc_co_u32 v13, vcc, v5, v9, vcc               // addrVgpr = C + index*bytes (hi)
_global_load_b128 v[16:19], v[12:13], off, offset:0 // load C for beta calc
GLOBAL_OFFSET_D 12, 0, 1, 8
v_mov_b32 v8, v12                                  // temp store offset 0
v_mov_b32 v9, v13                                  // temp store offset 1
_v_add_co_u32 v12, vcc, v2, v8                     // addrVgpr = D + index*bytes (lo)
_v_addc_co_u32 v13, vcc, v3, v9, vcc               // addrVgpr = D + index*bytes (hi)
/* (d1,vc1,d0,vc0)=(1,1,0,0) */
_v_add_co_u32 v1, vcc, v1, 1                       // coord1.1: coord1Vgpr += d1*sg1*VW + vc1
GLOBAL_OFFSET_C 14, 0, 1, 8
v_mov_b32 v8, v14                                  // temp store offset 0
v_mov_b32 v9, v15                                  // temp store offset 1
_v_add_co_u32 v14, vcc, v4, v8                     // addrVgpr = C + index*bytes (lo)
_v_addc_co_u32 v15, vcc, v5, v9, vcc               // addrVgpr = C + index*bytes (hi)
_global_load_b128 v[24:27], v[14:15], off, offset:0 // load C for beta calc
GLOBAL_OFFSET_D 14, 0, 1, 8
v_mov_b32 v8, v14                                  // temp store offset 0
v_mov_b32 v9, v15                                  // temp store offset 1
_v_add_co_u32 v14, vcc, v2, v8                     // addrVgpr = D + index*bytes (lo)
_v_addc_co_u32 v15, vcc, v3, v9, vcc               // addrVgpr = D + index*bytes (hi)
v_accvgpr_read_b32 v[vgprValuC+20], acc8 // copy acc to vreg[16]
v_accvgpr_read_b32 v[vgprValuC+21], acc40 // copy acc to vreg[17]
v_accvgpr_read_b32 v[vgprValuC+22], acc12 // copy acc to vreg[18]
v_accvgpr_read_b32 v[vgprValuC+23], acc44 // copy acc to vreg[19]
v_accvgpr_read_b32 v[vgprValuC+28], acc9 // copy acc to vreg[20]
v_accvgpr_read_b32 v[vgprValuC+29], acc41 // copy acc to vreg[21]
v_accvgpr_read_b32 v[vgprValuC+30], acc13 // copy acc to vreg[22]
v_accvgpr_read_b32 v[vgprValuC+31], acc45 // copy acc to vreg[23]
s_nop 1                                            // 2 wait states required before reading vgpr

/* rC *= alpha batchElements=[(1, 0, 0, 0), (1, 0, 1, 0)] */
v_mov_b32 v11, v[vgprValuC+20]                     // store Cr
v_mul_f32 v[vgprValuC+20], s[sgprAlpha], v[vgprValuC+20] // *= alpha ( Cr = Ar * Cr)
_v_mac_f32 v[vgprValuC+20], -s[sgprAlpha+1], v[vgprValuC+21] // *= alpha ( Cr += -Ai * Ci )
v_mul_f32 v[vgprValuC+21], s[sgprAlpha], v[vgprValuC+21] // *= alpha ( Ci = Ar * Ci)
_v_mac_f32 v[vgprValuC+21], s[sgprAlpha+1], v11    // *= alpha ( Ci += Ai * Cr_backup )
v_mov_b32 v11, v[vgprValuC+22]                     // store Cr
v_mul_f32 v[vgprValuC+22], s[sgprAlpha], v[vgprValuC+22] // *= alpha ( Cr = Ar * Cr)
_v_mac_f32 v[vgprValuC+22], -s[sgprAlpha+1], v[vgprValuC+23] // *= alpha ( Cr += -Ai * Ci )
v_mul_f32 v[vgprValuC+23], s[sgprAlpha], v[vgprValuC+23] // *= alpha ( Ci = Ar * Ci)
_v_mac_f32 v[vgprValuC+23], s[sgprAlpha+1], v11    // *= alpha ( Ci += Ai * Cr_backup )
	;; [unrolled: 5-line block ×4, first 2 shown]
s_waitcnt vmcnt(0)                                 // wait C

/* apply mask, calc new C and issue writes */
_v_mac_f32 v[vgprValuC+20], v16, s[sgprBeta]       // finalSum Cr += old Cr * Br
_v_mac_f32 v[vgprValuC+20], v17, -s[sgprBeta+1]    // finalSum Cr += old Ci * -Bi
_v_mac_f32 v[vgprValuC+21], v17, s[sgprBeta]       // finalSum Ci += old Ci * Br
_v_mac_f32 v[vgprValuC+21], v16, s[sgprBeta+1]     // finalSum Ci += old Cr * Bi
_v_mac_f32 v[vgprValuC+22], v18, s[sgprBeta]       // finalSum Cr += old Cr * Br
_v_mac_f32 v[vgprValuC+22], v19, -s[sgprBeta+1]    // finalSum Cr += old Ci * -Bi
_v_mac_f32 v[vgprValuC+23], v19, s[sgprBeta]       // finalSum Ci += old Ci * Br
_v_mac_f32 v[vgprValuC+23], v18, s[sgprBeta+1]     // finalSum Ci += old Cr * Bi
_global_store_b128 v[12:13], v[20:23], off         // store D
_v_mac_f32 v[vgprValuC+28], v24, s[sgprBeta]       // finalSum Cr += old Cr * Br
_v_mac_f32 v[vgprValuC+28], v25, -s[sgprBeta+1]    // finalSum Cr += old Ci * -Bi
_v_mac_f32 v[vgprValuC+29], v25, s[sgprBeta]       // finalSum Ci += old Ci * Br
_v_mac_f32 v[vgprValuC+29], v24, s[sgprBeta+1]     // finalSum Ci += old Cr * Bi
_v_mac_f32 v[vgprValuC+30], v26, s[sgprBeta]       // finalSum Cr += old Cr * Br
_v_mac_f32 v[vgprValuC+30], v27, -s[sgprBeta+1]    // finalSum Cr += old Ci * -Bi
_v_mac_f32 v[vgprValuC+31], v27, s[sgprBeta]       // finalSum Ci += old Ci * Br
_v_mac_f32 v[vgprValuC+31], v26, s[sgprBeta+1]     // finalSum Ci += old Cr * Bi
_global_store_b128 v[14:15], v[28:31], off         // store D
s_nop 0                                            // 1 wait state required when next inst writes vgprs held by previous dwordx4 store inst
/* optSingleColVgpr=0 optSharedColVgpr=0 optSGPRUsage=None optSrdIncForRow=0 */

/******************************************/
/* Global Write Alpha Beta Batch #3 (d1,d0,vc1,vc0) = */
/*    (1,0,2,0:vw2); (1,0,3,0:vw2)        */
/******************************************/

/* calc coords, apply mask, and issue loads (if necessary) */
/* (d1,vc1,d0,vc0)=(1,2,0,0) */
_v_add_co_u32 v1, vcc, v1, 1                       // coord1.1: coord1Vgpr += d1*sg1*VW + vc1
GLOBAL_OFFSET_C 12, 0, 1, 8
v_mov_b32 v8, v12                                  // temp store offset 0
v_mov_b32 v9, v13                                  // temp store offset 1
_v_add_co_u32 v12, vcc, v4, v8                     // addrVgpr = C + index*bytes (lo)
_v_addc_co_u32 v13, vcc, v5, v9, vcc               // addrVgpr = C + index*bytes (hi)
_global_load_b128 v[16:19], v[12:13], off, offset:0 // load C for beta calc
GLOBAL_OFFSET_D 12, 0, 1, 8
v_mov_b32 v8, v12                                  // temp store offset 0
v_mov_b32 v9, v13                                  // temp store offset 1
_v_add_co_u32 v12, vcc, v2, v8                     // addrVgpr = D + index*bytes (lo)
_v_addc_co_u32 v13, vcc, v3, v9, vcc               // addrVgpr = D + index*bytes (hi)
/* (d1,vc1,d0,vc0)=(1,3,0,0) */
_v_add_co_u32 v1, vcc, v1, 1                       // coord1.1: coord1Vgpr += d1*sg1*VW + vc1
GLOBAL_OFFSET_C 14, 0, 1, 8
v_mov_b32 v8, v14                                  // temp store offset 0
v_mov_b32 v9, v15                                  // temp store offset 1
_v_add_co_u32 v14, vcc, v4, v8                     // addrVgpr = C + index*bytes (lo)
_v_addc_co_u32 v15, vcc, v5, v9, vcc               // addrVgpr = C + index*bytes (hi)
_global_load_b128 v[24:27], v[14:15], off, offset:0 // load C for beta calc
GLOBAL_OFFSET_D 14, 0, 1, 8
v_mov_b32 v8, v14                                  // temp store offset 0
v_mov_b32 v9, v15                                  // temp store offset 1
_v_add_co_u32 v14, vcc, v2, v8                     // addrVgpr = D + index*bytes (lo)
_v_addc_co_u32 v15, vcc, v3, v9, vcc               // addrVgpr = D + index*bytes (hi)
v_accvgpr_read_b32 v[vgprValuC+20], acc10 // copy acc to vreg[24]
v_accvgpr_read_b32 v[vgprValuC+21], acc42 // copy acc to vreg[25]
v_accvgpr_read_b32 v[vgprValuC+22], acc14 // copy acc to vreg[26]
v_accvgpr_read_b32 v[vgprValuC+23], acc46 // copy acc to vreg[27]
v_accvgpr_read_b32 v[vgprValuC+28], acc11 // copy acc to vreg[28]
v_accvgpr_read_b32 v[vgprValuC+29], acc43 // copy acc to vreg[29]
v_accvgpr_read_b32 v[vgprValuC+30], acc15 // copy acc to vreg[30]
v_accvgpr_read_b32 v[vgprValuC+31], acc47 // copy acc to vreg[31]
s_nop 1                                            // 2 wait states required before reading vgpr

/* rC *= alpha batchElements=[(1, 0, 2, 0), (1, 0, 3, 0)] */
v_mov_b32 v11, v[vgprValuC+20]                     // store Cr
v_mul_f32 v[vgprValuC+20], s[sgprAlpha], v[vgprValuC+20] // *= alpha ( Cr = Ar * Cr)
_v_mac_f32 v[vgprValuC+20], -s[sgprAlpha+1], v[vgprValuC+21] // *= alpha ( Cr += -Ai * Ci )
v_mul_f32 v[vgprValuC+21], s[sgprAlpha], v[vgprValuC+21] // *= alpha ( Ci = Ar * Ci)
_v_mac_f32 v[vgprValuC+21], s[sgprAlpha+1], v11    // *= alpha ( Ci += Ai * Cr_backup )
v_mov_b32 v11, v[vgprValuC+22]                     // store Cr
v_mul_f32 v[vgprValuC+22], s[sgprAlpha], v[vgprValuC+22] // *= alpha ( Cr = Ar * Cr)
_v_mac_f32 v[vgprValuC+22], -s[sgprAlpha+1], v[vgprValuC+23] // *= alpha ( Cr += -Ai * Ci )
v_mul_f32 v[vgprValuC+23], s[sgprAlpha], v[vgprValuC+23] // *= alpha ( Ci = Ar * Ci)
_v_mac_f32 v[vgprValuC+23], s[sgprAlpha+1], v11    // *= alpha ( Ci += Ai * Cr_backup )
	;; [unrolled: 5-line block ×4, first 2 shown]
s_waitcnt vmcnt(0)                                 // wait C

/* apply mask, calc new C and issue writes */
_v_mac_f32 v[vgprValuC+20], v16, s[sgprBeta]       // finalSum Cr += old Cr * Br
_v_mac_f32 v[vgprValuC+20], v17, -s[sgprBeta+1]    // finalSum Cr += old Ci * -Bi
_v_mac_f32 v[vgprValuC+21], v17, s[sgprBeta]       // finalSum Ci += old Ci * Br
_v_mac_f32 v[vgprValuC+21], v16, s[sgprBeta+1]     // finalSum Ci += old Cr * Bi
_v_mac_f32 v[vgprValuC+22], v18, s[sgprBeta]       // finalSum Cr += old Cr * Br
_v_mac_f32 v[vgprValuC+22], v19, -s[sgprBeta+1]    // finalSum Cr += old Ci * -Bi
_v_mac_f32 v[vgprValuC+23], v19, s[sgprBeta]       // finalSum Ci += old Ci * Br
_v_mac_f32 v[vgprValuC+23], v18, s[sgprBeta+1]     // finalSum Ci += old Cr * Bi
_global_store_b128 v[12:13], v[20:23], off         // store D
_v_mac_f32 v[vgprValuC+28], v24, s[sgprBeta]       // finalSum Cr += old Cr * Br
_v_mac_f32 v[vgprValuC+28], v25, -s[sgprBeta+1]    // finalSum Cr += old Ci * -Bi
_v_mac_f32 v[vgprValuC+29], v25, s[sgprBeta]       // finalSum Ci += old Ci * Br
_v_mac_f32 v[vgprValuC+29], v24, s[sgprBeta+1]     // finalSum Ci += old Cr * Bi
_v_mac_f32 v[vgprValuC+30], v26, s[sgprBeta]       // finalSum Cr += old Cr * Br
_v_mac_f32 v[vgprValuC+30], v27, -s[sgprBeta+1]    // finalSum Cr += old Ci * -Bi
_v_mac_f32 v[vgprValuC+31], v27, s[sgprBeta]       // finalSum Ci += old Ci * Br
_v_mac_f32 v[vgprValuC+31], v26, s[sgprBeta+1]     // finalSum Ci += old Cr * Bi
_global_store_b128 v[14:15], v[28:31], off         // store D
s_nop 0                                            // 1 wait state required when next inst writes vgprs held by previous dwordx4 store inst
/* optSingleColVgpr=0 optSharedColVgpr=0 optSGPRUsage=None optSrdIncForRow=0 */

/******************************************/
/* Global Write Alpha Beta Batch #4 (d1,d0,vc1,vc0) = */
/*    (2,0,0,0:vw2); (2,0,1,0:vw2)        */
/******************************************/

/* calc coords, apply mask, and issue loads (if necessary) */
/* (d1,vc1,d0,vc0)=(2,0,0,0) */
_v_add_co_u32 v1, vcc, v1, 13                      // coord1.1: coord1Vgpr += d1*sg1*VW + vc1
GLOBAL_OFFSET_C 12, 0, 1, 8
v_mov_b32 v8, v12                                  // temp store offset 0
v_mov_b32 v9, v13                                  // temp store offset 1
_v_add_co_u32 v12, vcc, v4, v8                     // addrVgpr = C + index*bytes (lo)
_v_addc_co_u32 v13, vcc, v5, v9, vcc               // addrVgpr = C + index*bytes (hi)
_global_load_b128 v[16:19], v[12:13], off, offset:0 // load C for beta calc
GLOBAL_OFFSET_D 12, 0, 1, 8
v_mov_b32 v8, v12                                  // temp store offset 0
v_mov_b32 v9, v13                                  // temp store offset 1
_v_add_co_u32 v12, vcc, v2, v8                     // addrVgpr = D + index*bytes (lo)
_v_addc_co_u32 v13, vcc, v3, v9, vcc               // addrVgpr = D + index*bytes (hi)
/* (d1,vc1,d0,vc0)=(2,1,0,0) */
_v_add_co_u32 v1, vcc, v1, 1                       // coord1.1: coord1Vgpr += d1*sg1*VW + vc1
GLOBAL_OFFSET_C 14, 0, 1, 8
v_mov_b32 v8, v14                                  // temp store offset 0
v_mov_b32 v9, v15                                  // temp store offset 1
_v_add_co_u32 v14, vcc, v4, v8                     // addrVgpr = C + index*bytes (lo)
_v_addc_co_u32 v15, vcc, v5, v9, vcc               // addrVgpr = C + index*bytes (hi)
_global_load_b128 v[24:27], v[14:15], off, offset:0 // load C for beta calc
GLOBAL_OFFSET_D 14, 0, 1, 8
v_mov_b32 v8, v14                                  // temp store offset 0
v_mov_b32 v9, v15                                  // temp store offset 1
_v_add_co_u32 v14, vcc, v2, v8                     // addrVgpr = D + index*bytes (lo)
_v_addc_co_u32 v15, vcc, v3, v9, vcc               // addrVgpr = D + index*bytes (hi)
v_accvgpr_read_b32 v[vgprValuC+20], acc16 // copy acc to vreg[32]
v_accvgpr_read_b32 v[vgprValuC+21], acc48 // copy acc to vreg[33]
v_accvgpr_read_b32 v[vgprValuC+22], acc20 // copy acc to vreg[34]
v_accvgpr_read_b32 v[vgprValuC+23], acc52 // copy acc to vreg[35]
v_accvgpr_read_b32 v[vgprValuC+28], acc17 // copy acc to vreg[36]
v_accvgpr_read_b32 v[vgprValuC+29], acc49 // copy acc to vreg[37]
v_accvgpr_read_b32 v[vgprValuC+30], acc21 // copy acc to vreg[38]
v_accvgpr_read_b32 v[vgprValuC+31], acc53 // copy acc to vreg[39]
s_nop 1                                            // 2 wait states required before reading vgpr

/* rC *= alpha batchElements=[(2, 0, 0, 0), (2, 0, 1, 0)] */
v_mov_b32 v11, v[vgprValuC+20]                     // store Cr
v_mul_f32 v[vgprValuC+20], s[sgprAlpha], v[vgprValuC+20] // *= alpha ( Cr = Ar * Cr)
_v_mac_f32 v[vgprValuC+20], -s[sgprAlpha+1], v[vgprValuC+21] // *= alpha ( Cr += -Ai * Ci )
v_mul_f32 v[vgprValuC+21], s[sgprAlpha], v[vgprValuC+21] // *= alpha ( Ci = Ar * Ci)
_v_mac_f32 v[vgprValuC+21], s[sgprAlpha+1], v11    // *= alpha ( Ci += Ai * Cr_backup )
v_mov_b32 v11, v[vgprValuC+22]                     // store Cr
v_mul_f32 v[vgprValuC+22], s[sgprAlpha], v[vgprValuC+22] // *= alpha ( Cr = Ar * Cr)
_v_mac_f32 v[vgprValuC+22], -s[sgprAlpha+1], v[vgprValuC+23] // *= alpha ( Cr += -Ai * Ci )
v_mul_f32 v[vgprValuC+23], s[sgprAlpha], v[vgprValuC+23] // *= alpha ( Ci = Ar * Ci)
_v_mac_f32 v[vgprValuC+23], s[sgprAlpha+1], v11    // *= alpha ( Ci += Ai * Cr_backup )
	;; [unrolled: 5-line block ×4, first 2 shown]
s_waitcnt vmcnt(0)                                 // wait C

/* apply mask, calc new C and issue writes */
_v_mac_f32 v[vgprValuC+20], v16, s[sgprBeta]       // finalSum Cr += old Cr * Br
_v_mac_f32 v[vgprValuC+20], v17, -s[sgprBeta+1]    // finalSum Cr += old Ci * -Bi
_v_mac_f32 v[vgprValuC+21], v17, s[sgprBeta]       // finalSum Ci += old Ci * Br
_v_mac_f32 v[vgprValuC+21], v16, s[sgprBeta+1]     // finalSum Ci += old Cr * Bi
_v_mac_f32 v[vgprValuC+22], v18, s[sgprBeta]       // finalSum Cr += old Cr * Br
_v_mac_f32 v[vgprValuC+22], v19, -s[sgprBeta+1]    // finalSum Cr += old Ci * -Bi
_v_mac_f32 v[vgprValuC+23], v19, s[sgprBeta]       // finalSum Ci += old Ci * Br
_v_mac_f32 v[vgprValuC+23], v18, s[sgprBeta+1]     // finalSum Ci += old Cr * Bi
_global_store_b128 v[12:13], v[20:23], off         // store D
_v_mac_f32 v[vgprValuC+28], v24, s[sgprBeta]       // finalSum Cr += old Cr * Br
_v_mac_f32 v[vgprValuC+28], v25, -s[sgprBeta+1]    // finalSum Cr += old Ci * -Bi
_v_mac_f32 v[vgprValuC+29], v25, s[sgprBeta]       // finalSum Ci += old Ci * Br
_v_mac_f32 v[vgprValuC+29], v24, s[sgprBeta+1]     // finalSum Ci += old Cr * Bi
_v_mac_f32 v[vgprValuC+30], v26, s[sgprBeta]       // finalSum Cr += old Cr * Br
_v_mac_f32 v[vgprValuC+30], v27, -s[sgprBeta+1]    // finalSum Cr += old Ci * -Bi
_v_mac_f32 v[vgprValuC+31], v27, s[sgprBeta]       // finalSum Ci += old Ci * Br
_v_mac_f32 v[vgprValuC+31], v26, s[sgprBeta+1]     // finalSum Ci += old Cr * Bi
_global_store_b128 v[14:15], v[28:31], off         // store D
s_nop 0                                            // 1 wait state required when next inst writes vgprs held by previous dwordx4 store inst
/* optSingleColVgpr=0 optSharedColVgpr=0 optSGPRUsage=None optSrdIncForRow=0 */

/******************************************/
/* Global Write Alpha Beta Batch #5 (d1,d0,vc1,vc0) = */
/*    (2,0,2,0:vw2); (2,0,3,0:vw2)        */
/******************************************/

/* calc coords, apply mask, and issue loads (if necessary) */
/* (d1,vc1,d0,vc0)=(2,2,0,0) */
_v_add_co_u32 v1, vcc, v1, 1                       // coord1.1: coord1Vgpr += d1*sg1*VW + vc1
GLOBAL_OFFSET_C 12, 0, 1, 8
v_mov_b32 v8, v12                                  // temp store offset 0
v_mov_b32 v9, v13                                  // temp store offset 1
_v_add_co_u32 v12, vcc, v4, v8                     // addrVgpr = C + index*bytes (lo)
_v_addc_co_u32 v13, vcc, v5, v9, vcc               // addrVgpr = C + index*bytes (hi)
_global_load_b128 v[16:19], v[12:13], off, offset:0 // load C for beta calc
GLOBAL_OFFSET_D 12, 0, 1, 8
v_mov_b32 v8, v12                                  // temp store offset 0
v_mov_b32 v9, v13                                  // temp store offset 1
_v_add_co_u32 v12, vcc, v2, v8                     // addrVgpr = D + index*bytes (lo)
_v_addc_co_u32 v13, vcc, v3, v9, vcc               // addrVgpr = D + index*bytes (hi)
/* (d1,vc1,d0,vc0)=(2,3,0,0) */
_v_add_co_u32 v1, vcc, v1, 1                       // coord1.1: coord1Vgpr += d1*sg1*VW + vc1
GLOBAL_OFFSET_C 14, 0, 1, 8
v_mov_b32 v8, v14                                  // temp store offset 0
v_mov_b32 v9, v15                                  // temp store offset 1
_v_add_co_u32 v14, vcc, v4, v8                     // addrVgpr = C + index*bytes (lo)
_v_addc_co_u32 v15, vcc, v5, v9, vcc               // addrVgpr = C + index*bytes (hi)
_global_load_b128 v[24:27], v[14:15], off, offset:0 // load C for beta calc
GLOBAL_OFFSET_D 14, 0, 1, 8
v_mov_b32 v8, v14                                  // temp store offset 0
v_mov_b32 v9, v15                                  // temp store offset 1
_v_add_co_u32 v14, vcc, v2, v8                     // addrVgpr = D + index*bytes (lo)
_v_addc_co_u32 v15, vcc, v3, v9, vcc               // addrVgpr = D + index*bytes (hi)
v_accvgpr_read_b32 v[vgprValuC+20], acc18 // copy acc to vreg[40]
v_accvgpr_read_b32 v[vgprValuC+21], acc50 // copy acc to vreg[41]
v_accvgpr_read_b32 v[vgprValuC+22], acc22 // copy acc to vreg[42]
v_accvgpr_read_b32 v[vgprValuC+23], acc54 // copy acc to vreg[43]
v_accvgpr_read_b32 v[vgprValuC+28], acc19 // copy acc to vreg[44]
v_accvgpr_read_b32 v[vgprValuC+29], acc51 // copy acc to vreg[45]
v_accvgpr_read_b32 v[vgprValuC+30], acc23 // copy acc to vreg[46]
v_accvgpr_read_b32 v[vgprValuC+31], acc55 // copy acc to vreg[47]
s_nop 1                                            // 2 wait states required before reading vgpr

/* rC *= alpha batchElements=[(2, 0, 2, 0), (2, 0, 3, 0)] */
v_mov_b32 v11, v[vgprValuC+20]                     // store Cr
v_mul_f32 v[vgprValuC+20], s[sgprAlpha], v[vgprValuC+20] // *= alpha ( Cr = Ar * Cr)
_v_mac_f32 v[vgprValuC+20], -s[sgprAlpha+1], v[vgprValuC+21] // *= alpha ( Cr += -Ai * Ci )
v_mul_f32 v[vgprValuC+21], s[sgprAlpha], v[vgprValuC+21] // *= alpha ( Ci = Ar * Ci)
_v_mac_f32 v[vgprValuC+21], s[sgprAlpha+1], v11    // *= alpha ( Ci += Ai * Cr_backup )
v_mov_b32 v11, v[vgprValuC+22]                     // store Cr
v_mul_f32 v[vgprValuC+22], s[sgprAlpha], v[vgprValuC+22] // *= alpha ( Cr = Ar * Cr)
_v_mac_f32 v[vgprValuC+22], -s[sgprAlpha+1], v[vgprValuC+23] // *= alpha ( Cr += -Ai * Ci )
v_mul_f32 v[vgprValuC+23], s[sgprAlpha], v[vgprValuC+23] // *= alpha ( Ci = Ar * Ci)
_v_mac_f32 v[vgprValuC+23], s[sgprAlpha+1], v11    // *= alpha ( Ci += Ai * Cr_backup )
	;; [unrolled: 5-line block ×4, first 2 shown]
s_waitcnt vmcnt(0)                                 // wait C

/* apply mask, calc new C and issue writes */
_v_mac_f32 v[vgprValuC+20], v16, s[sgprBeta]       // finalSum Cr += old Cr * Br
_v_mac_f32 v[vgprValuC+20], v17, -s[sgprBeta+1]    // finalSum Cr += old Ci * -Bi
_v_mac_f32 v[vgprValuC+21], v17, s[sgprBeta]       // finalSum Ci += old Ci * Br
_v_mac_f32 v[vgprValuC+21], v16, s[sgprBeta+1]     // finalSum Ci += old Cr * Bi
_v_mac_f32 v[vgprValuC+22], v18, s[sgprBeta]       // finalSum Cr += old Cr * Br
_v_mac_f32 v[vgprValuC+22], v19, -s[sgprBeta+1]    // finalSum Cr += old Ci * -Bi
_v_mac_f32 v[vgprValuC+23], v19, s[sgprBeta]       // finalSum Ci += old Ci * Br
_v_mac_f32 v[vgprValuC+23], v18, s[sgprBeta+1]     // finalSum Ci += old Cr * Bi
_global_store_b128 v[12:13], v[20:23], off         // store D
_v_mac_f32 v[vgprValuC+28], v24, s[sgprBeta]       // finalSum Cr += old Cr * Br
_v_mac_f32 v[vgprValuC+28], v25, -s[sgprBeta+1]    // finalSum Cr += old Ci * -Bi
_v_mac_f32 v[vgprValuC+29], v25, s[sgprBeta]       // finalSum Ci += old Ci * Br
_v_mac_f32 v[vgprValuC+29], v24, s[sgprBeta+1]     // finalSum Ci += old Cr * Bi
_v_mac_f32 v[vgprValuC+30], v26, s[sgprBeta]       // finalSum Cr += old Cr * Br
_v_mac_f32 v[vgprValuC+30], v27, -s[sgprBeta+1]    // finalSum Cr += old Ci * -Bi
_v_mac_f32 v[vgprValuC+31], v27, s[sgprBeta]       // finalSum Ci += old Ci * Br
_v_mac_f32 v[vgprValuC+31], v26, s[sgprBeta+1]     // finalSum Ci += old Cr * Bi
_global_store_b128 v[14:15], v[28:31], off         // store D
s_nop 0                                            // 1 wait state required when next inst writes vgprs held by previous dwordx4 store inst
/* optSingleColVgpr=0 optSharedColVgpr=0 optSGPRUsage=None optSrdIncForRow=0 */

/******************************************/
/* Global Write Alpha Beta Batch #6 (d1,d0,vc1,vc0) = */
/*    (3,0,0,0:vw2); (3,0,1,0:vw2)        */
/******************************************/

/* calc coords, apply mask, and issue loads (if necessary) */
/* (d1,vc1,d0,vc0)=(3,0,0,0) */
_v_add_co_u32 v1, vcc, v1, 13                      // coord1.1: coord1Vgpr += d1*sg1*VW + vc1
GLOBAL_OFFSET_C 12, 0, 1, 8
v_mov_b32 v8, v12                                  // temp store offset 0
v_mov_b32 v9, v13                                  // temp store offset 1
_v_add_co_u32 v12, vcc, v4, v8                     // addrVgpr = C + index*bytes (lo)
_v_addc_co_u32 v13, vcc, v5, v9, vcc               // addrVgpr = C + index*bytes (hi)
_global_load_b128 v[16:19], v[12:13], off, offset:0 // load C for beta calc
GLOBAL_OFFSET_D 12, 0, 1, 8
v_mov_b32 v8, v12                                  // temp store offset 0
v_mov_b32 v9, v13                                  // temp store offset 1
_v_add_co_u32 v12, vcc, v2, v8                     // addrVgpr = D + index*bytes (lo)
_v_addc_co_u32 v13, vcc, v3, v9, vcc               // addrVgpr = D + index*bytes (hi)
/* (d1,vc1,d0,vc0)=(3,1,0,0) */
_v_add_co_u32 v1, vcc, v1, 1                       // coord1.1: coord1Vgpr += d1*sg1*VW + vc1
GLOBAL_OFFSET_C 14, 0, 1, 8
v_mov_b32 v8, v14                                  // temp store offset 0
v_mov_b32 v9, v15                                  // temp store offset 1
_v_add_co_u32 v14, vcc, v4, v8                     // addrVgpr = C + index*bytes (lo)
_v_addc_co_u32 v15, vcc, v5, v9, vcc               // addrVgpr = C + index*bytes (hi)
_global_load_b128 v[24:27], v[14:15], off, offset:0 // load C for beta calc
GLOBAL_OFFSET_D 14, 0, 1, 8
v_mov_b32 v8, v14                                  // temp store offset 0
v_mov_b32 v9, v15                                  // temp store offset 1
_v_add_co_u32 v14, vcc, v2, v8                     // addrVgpr = D + index*bytes (lo)
_v_addc_co_u32 v15, vcc, v3, v9, vcc               // addrVgpr = D + index*bytes (hi)
v_accvgpr_read_b32 v[vgprValuC+20], acc24 // copy acc to vreg[48]
v_accvgpr_read_b32 v[vgprValuC+21], acc56 // copy acc to vreg[49]
v_accvgpr_read_b32 v[vgprValuC+22], acc28 // copy acc to vreg[50]
v_accvgpr_read_b32 v[vgprValuC+23], acc60 // copy acc to vreg[51]
v_accvgpr_read_b32 v[vgprValuC+28], acc25 // copy acc to vreg[52]
v_accvgpr_read_b32 v[vgprValuC+29], acc57 // copy acc to vreg[53]
v_accvgpr_read_b32 v[vgprValuC+30], acc29 // copy acc to vreg[54]
v_accvgpr_read_b32 v[vgprValuC+31], acc61 // copy acc to vreg[55]
s_nop 1                                            // 2 wait states required before reading vgpr

/* rC *= alpha batchElements=[(3, 0, 0, 0), (3, 0, 1, 0)] */
v_mov_b32 v11, v[vgprValuC+20]                     // store Cr
v_mul_f32 v[vgprValuC+20], s[sgprAlpha], v[vgprValuC+20] // *= alpha ( Cr = Ar * Cr)
_v_mac_f32 v[vgprValuC+20], -s[sgprAlpha+1], v[vgprValuC+21] // *= alpha ( Cr += -Ai * Ci )
v_mul_f32 v[vgprValuC+21], s[sgprAlpha], v[vgprValuC+21] // *= alpha ( Ci = Ar * Ci)
_v_mac_f32 v[vgprValuC+21], s[sgprAlpha+1], v11    // *= alpha ( Ci += Ai * Cr_backup )
v_mov_b32 v11, v[vgprValuC+22]                     // store Cr
v_mul_f32 v[vgprValuC+22], s[sgprAlpha], v[vgprValuC+22] // *= alpha ( Cr = Ar * Cr)
_v_mac_f32 v[vgprValuC+22], -s[sgprAlpha+1], v[vgprValuC+23] // *= alpha ( Cr += -Ai * Ci )
v_mul_f32 v[vgprValuC+23], s[sgprAlpha], v[vgprValuC+23] // *= alpha ( Ci = Ar * Ci)
_v_mac_f32 v[vgprValuC+23], s[sgprAlpha+1], v11    // *= alpha ( Ci += Ai * Cr_backup )
	;; [unrolled: 5-line block ×4, first 2 shown]
s_waitcnt vmcnt(0)                                 // wait C

/* apply mask, calc new C and issue writes */
_v_mac_f32 v[vgprValuC+20], v16, s[sgprBeta]       // finalSum Cr += old Cr * Br
_v_mac_f32 v[vgprValuC+20], v17, -s[sgprBeta+1]    // finalSum Cr += old Ci * -Bi
_v_mac_f32 v[vgprValuC+21], v17, s[sgprBeta]       // finalSum Ci += old Ci * Br
_v_mac_f32 v[vgprValuC+21], v16, s[sgprBeta+1]     // finalSum Ci += old Cr * Bi
_v_mac_f32 v[vgprValuC+22], v18, s[sgprBeta]       // finalSum Cr += old Cr * Br
_v_mac_f32 v[vgprValuC+22], v19, -s[sgprBeta+1]    // finalSum Cr += old Ci * -Bi
_v_mac_f32 v[vgprValuC+23], v19, s[sgprBeta]       // finalSum Ci += old Ci * Br
_v_mac_f32 v[vgprValuC+23], v18, s[sgprBeta+1]     // finalSum Ci += old Cr * Bi
_global_store_b128 v[12:13], v[20:23], off         // store D
_v_mac_f32 v[vgprValuC+28], v24, s[sgprBeta]       // finalSum Cr += old Cr * Br
_v_mac_f32 v[vgprValuC+28], v25, -s[sgprBeta+1]    // finalSum Cr += old Ci * -Bi
_v_mac_f32 v[vgprValuC+29], v25, s[sgprBeta]       // finalSum Ci += old Ci * Br
_v_mac_f32 v[vgprValuC+29], v24, s[sgprBeta+1]     // finalSum Ci += old Cr * Bi
_v_mac_f32 v[vgprValuC+30], v26, s[sgprBeta]       // finalSum Cr += old Cr * Br
_v_mac_f32 v[vgprValuC+30], v27, -s[sgprBeta+1]    // finalSum Cr += old Ci * -Bi
_v_mac_f32 v[vgprValuC+31], v27, s[sgprBeta]       // finalSum Ci += old Ci * Br
_v_mac_f32 v[vgprValuC+31], v26, s[sgprBeta+1]     // finalSum Ci += old Cr * Bi
_global_store_b128 v[14:15], v[28:31], off         // store D
s_nop 0                                            // 1 wait state required when next inst writes vgprs held by previous dwordx4 store inst
/* optSingleColVgpr=0 optSharedColVgpr=0 optSGPRUsage=None optSrdIncForRow=0 */

/******************************************/
/* Global Write Alpha Beta Batch #7 (d1,d0,vc1,vc0) = */
/*    (3,0,2,0:vw2); (3,0,3,0:vw2)        */
/******************************************/

/* calc coords, apply mask, and issue loads (if necessary) */
/* (d1,vc1,d0,vc0)=(3,2,0,0) */
_v_add_co_u32 v1, vcc, v1, 1                       // coord1.1: coord1Vgpr += d1*sg1*VW + vc1
GLOBAL_OFFSET_C 12, 0, 1, 8
v_mov_b32 v8, v12                                  // temp store offset 0
v_mov_b32 v9, v13                                  // temp store offset 1
_v_add_co_u32 v12, vcc, v4, v8                     // addrVgpr = C + index*bytes (lo)
_v_addc_co_u32 v13, vcc, v5, v9, vcc               // addrVgpr = C + index*bytes (hi)
_global_load_b128 v[16:19], v[12:13], off, offset:0 // load C for beta calc
GLOBAL_OFFSET_D 12, 0, 1, 8
v_mov_b32 v8, v12                                  // temp store offset 0
v_mov_b32 v9, v13                                  // temp store offset 1
_v_add_co_u32 v12, vcc, v2, v8                     // addrVgpr = D + index*bytes (lo)
_v_addc_co_u32 v13, vcc, v3, v9, vcc               // addrVgpr = D + index*bytes (hi)
/* (d1,vc1,d0,vc0)=(3,3,0,0) */
_v_add_co_u32 v1, vcc, v1, 1                       // coord1.1: coord1Vgpr += d1*sg1*VW + vc1
GLOBAL_OFFSET_C 14, 0, 1, 8
v_mov_b32 v8, v14                                  // temp store offset 0
v_mov_b32 v9, v15                                  // temp store offset 1
_v_add_co_u32 v14, vcc, v4, v8                     // addrVgpr = C + index*bytes (lo)
_v_addc_co_u32 v15, vcc, v5, v9, vcc               // addrVgpr = C + index*bytes (hi)
_global_load_b128 v[24:27], v[14:15], off, offset:0 // load C for beta calc
GLOBAL_OFFSET_D 14, 0, 1, 8
v_mov_b32 v8, v14                                  // temp store offset 0
v_mov_b32 v9, v15                                  // temp store offset 1
_v_add_co_u32 v14, vcc, v2, v8                     // addrVgpr = D + index*bytes (lo)
_v_addc_co_u32 v15, vcc, v3, v9, vcc               // addrVgpr = D + index*bytes (hi)
v_accvgpr_read_b32 v[vgprValuC+20], acc26 // copy acc to vreg[56]
v_accvgpr_read_b32 v[vgprValuC+21], acc58 // copy acc to vreg[57]
v_accvgpr_read_b32 v[vgprValuC+22], acc30 // copy acc to vreg[58]
v_accvgpr_read_b32 v[vgprValuC+23], acc62 // copy acc to vreg[59]
v_accvgpr_read_b32 v[vgprValuC+28], acc27 // copy acc to vreg[60]
v_accvgpr_read_b32 v[vgprValuC+29], acc59 // copy acc to vreg[61]
v_accvgpr_read_b32 v[vgprValuC+30], acc31 // copy acc to vreg[62]
v_accvgpr_read_b32 v[vgprValuC+31], acc63 // copy acc to vreg[63]
s_nop 1                                            // 2 wait states required before reading vgpr

/* rC *= alpha batchElements=[(3, 0, 2, 0), (3, 0, 3, 0)] */
v_mov_b32 v11, v[vgprValuC+20]                     // store Cr
v_mul_f32 v[vgprValuC+20], s[sgprAlpha], v[vgprValuC+20] // *= alpha ( Cr = Ar * Cr)
_v_mac_f32 v[vgprValuC+20], -s[sgprAlpha+1], v[vgprValuC+21] // *= alpha ( Cr += -Ai * Ci )
v_mul_f32 v[vgprValuC+21], s[sgprAlpha], v[vgprValuC+21] // *= alpha ( Ci = Ar * Ci)
_v_mac_f32 v[vgprValuC+21], s[sgprAlpha+1], v11    // *= alpha ( Ci += Ai * Cr_backup )
v_mov_b32 v11, v[vgprValuC+22]                     // store Cr
v_mul_f32 v[vgprValuC+22], s[sgprAlpha], v[vgprValuC+22] // *= alpha ( Cr = Ar * Cr)
_v_mac_f32 v[vgprValuC+22], -s[sgprAlpha+1], v[vgprValuC+23] // *= alpha ( Cr += -Ai * Ci )
v_mul_f32 v[vgprValuC+23], s[sgprAlpha], v[vgprValuC+23] // *= alpha ( Ci = Ar * Ci)
_v_mac_f32 v[vgprValuC+23], s[sgprAlpha+1], v11    // *= alpha ( Ci += Ai * Cr_backup )
	;; [unrolled: 5-line block ×4, first 2 shown]
s_waitcnt vmcnt(0)                                 // wait C

/* apply mask, calc new C and issue writes */
_v_mac_f32 v[vgprValuC+20], v16, s[sgprBeta]       // finalSum Cr += old Cr * Br
_v_mac_f32 v[vgprValuC+20], v17, -s[sgprBeta+1]    // finalSum Cr += old Ci * -Bi
_v_mac_f32 v[vgprValuC+21], v17, s[sgprBeta]       // finalSum Ci += old Ci * Br
_v_mac_f32 v[vgprValuC+21], v16, s[sgprBeta+1]     // finalSum Ci += old Cr * Bi
_v_mac_f32 v[vgprValuC+22], v18, s[sgprBeta]       // finalSum Cr += old Cr * Br
_v_mac_f32 v[vgprValuC+22], v19, -s[sgprBeta+1]    // finalSum Cr += old Ci * -Bi
_v_mac_f32 v[vgprValuC+23], v19, s[sgprBeta]       // finalSum Ci += old Ci * Br
_v_mac_f32 v[vgprValuC+23], v18, s[sgprBeta+1]     // finalSum Ci += old Cr * Bi
_global_store_b128 v[12:13], v[20:23], off         // store D
_v_mac_f32 v[vgprValuC+28], v24, s[sgprBeta]       // finalSum Cr += old Cr * Br
_v_mac_f32 v[vgprValuC+28], v25, -s[sgprBeta+1]    // finalSum Cr += old Ci * -Bi
_v_mac_f32 v[vgprValuC+29], v25, s[sgprBeta]       // finalSum Ci += old Ci * Br
_v_mac_f32 v[vgprValuC+29], v24, s[sgprBeta+1]     // finalSum Ci += old Cr * Bi
_v_mac_f32 v[vgprValuC+30], v26, s[sgprBeta]       // finalSum Cr += old Cr * Br
_v_mac_f32 v[vgprValuC+30], v27, -s[sgprBeta+1]    // finalSum Cr += old Ci * -Bi
_v_mac_f32 v[vgprValuC+31], v27, s[sgprBeta]       // finalSum Ci += old Ci * Br
_v_mac_f32 v[vgprValuC+31], v26, s[sgprBeta+1]     // finalSum Ci += old Cr * Bi
_global_store_b128 v[14:15], v[28:31], off         // store D
s_nop 0                                            // 1 wait state required when next inst writes vgprs held by previous dwordx4 store inst
s_branch label_GW_End_60                           // jump to end
GW_B1_E1_59:

/* edge=1, allocate 8 sgpr. perBatchTmpS=4 perBatchMaskS=0 perElementMaskS=2 elementsPerBatch=2 */
/* optSingleColVgpr=0 optSharedColVgpr=0 optSGPRUsage=None optSrdIncForRow=0 */

/******************************************/
/* Global Write Alpha Beta Edge Batch #0 (d1,d0,vc1,vc0) = */
/*    (0,0,0,0:vw1); (0,0,0,1:vw1)        */
/******************************************/

/* calc coords, apply mask, and issue loads (if necessary) */
/* (d1,vc1,d0,vc0)=(0,0,0,0) */
GLOBAL_OFFSET_C 12, 0, 1, 8
v_mov_b32 v8, v12                                  // temp store offset 0
v_mov_b32 v9, v13                                  // temp store offset 1
v_cmp_lt_u32 s[20:21], v0, s[sgprSizesFree+0]      // coord0 < size0
v_cmp_lt_u32 s[22:23], v1, s[sgprSizesFree+1]      // coord1 < size1
s_and_b64 s[24:25], s[20:21], s[22:23]             // in0 && in1
s_mov_b64 exec, s[24:25]                           // sgprs -> exec
_v_add_co_u32 v12, vcc, v4, v8                     // addrVgpr = C + index*bytes (lo)
_v_addc_co_u32 v13, vcc, v5, v9, vcc               // addrVgpr = C + index*bytes (hi)
_global_load_b64 v[14:15], v[12:13], off, offset:0 // load C for beta calc
GLOBAL_OFFSET_D 12, 0, 1, 8
v_mov_b32 v8, v12                                  // temp store offset 0
v_mov_b32 v9, v13                                  // temp store offset 1
v_cmp_lt_u32 s[20:21], v0, s[sgprSizesFree+0]      // coord0 < size0
v_cmp_lt_u32 s[22:23], v1, s[sgprSizesFree+1]      // coord1 < size1
s_and_b64 s[24:25], s[20:21], s[22:23]             // in0 && in1
s_mov_b64 exec, s[24:25]                           // sgprs -> exec
_v_add_co_u32 v12, vcc, v2, v8                     // addrVgpr = D + index*bytes (lo)
_v_addc_co_u32 v13, vcc, v3, v9, vcc               // addrVgpr = D + index*bytes (hi)
s_mov_b64 exec, -1                                 // full mask -1 -> exec
/* (d1,vc1,d0,vc0)=(0,0,0,1) */
_v_add_co_u32 v6, vcc, v0, 1                       // coord0.1: coord0 += d0*sg0*VW + vc0
GLOBAL_OFFSET_C 18, 6, 1, 8
v_mov_b32 v8, v18                                  // temp store offset 0
v_mov_b32 v9, v19                                  // temp store offset 1
v_cmp_lt_u32 s[20:21], v6, s[sgprSizesFree+0]      // coord0 < size0
v_cmp_lt_u32 s[22:23], v1, s[sgprSizesFree+1]      // coord1 < size1
s_and_b64 s[26:27], s[20:21], s[22:23]             // in0 && in1
s_mov_b64 exec, s[26:27]                           // sgprs -> exec
_v_add_co_u32 v18, vcc, v4, v8                     // addrVgpr = C + index*bytes (lo)
_v_addc_co_u32 v19, vcc, v5, v9, vcc               // addrVgpr = C + index*bytes (hi)
_global_load_b64 v[20:21], v[18:19], off, offset:0 // load C for beta calc
GLOBAL_OFFSET_D 18, 6, 1, 8
v_mov_b32 v8, v18                                  // temp store offset 0
v_mov_b32 v9, v19                                  // temp store offset 1
v_cmp_lt_u32 s[20:21], v6, s[sgprSizesFree+0]      // coord0 < size0
v_cmp_lt_u32 s[22:23], v1, s[sgprSizesFree+1]      // coord1 < size1
s_and_b64 s[26:27], s[20:21], s[22:23]             // in0 && in1
s_mov_b64 exec, s[26:27]                           // sgprs -> exec
_v_add_co_u32 v18, vcc, v2, v8                     // addrVgpr = D + index*bytes (lo)
_v_addc_co_u32 v19, vcc, v3, v9, vcc               // addrVgpr = D + index*bytes (hi)
s_mov_b64 exec, -1                                 // full mask -1 -> exec
v_accvgpr_read_b32 v[vgprValuC+16], acc0 // copy acc to vreg[0]
v_accvgpr_read_b32 v[vgprValuC+17], acc32 // copy acc to vreg[1]
v_accvgpr_read_b32 v[vgprValuC+22], acc4 // copy acc to vreg[2]
v_accvgpr_read_b32 v[vgprValuC+23], acc36 // copy acc to vreg[3]
s_nop 1                                            // 2 wait states required before reading vgpr

/* rC *= alpha batchElements=[(0, 0, 0, 0), (0, 0, 0, 1)] */
v_mov_b32 v11, v[vgprValuC+16]                     // store Cr
v_mul_f32 v[vgprValuC+16], s[sgprAlpha], v[vgprValuC+16] // *= alpha ( Cr = Ar * Cr)
_v_mac_f32 v[vgprValuC+16], -s[sgprAlpha+1], v[vgprValuC+17] // *= alpha ( Cr += -Ai * Ci )
v_mul_f32 v[vgprValuC+17], s[sgprAlpha], v[vgprValuC+17] // *= alpha ( Ci = Ar * Ci)
_v_mac_f32 v[vgprValuC+17], s[sgprAlpha+1], v11    // *= alpha ( Ci += Ai * Cr_backup )
v_mov_b32 v11, v[vgprValuC+22]                     // store Cr
v_mul_f32 v[vgprValuC+22], s[sgprAlpha], v[vgprValuC+22] // *= alpha ( Cr = Ar * Cr)
_v_mac_f32 v[vgprValuC+22], -s[sgprAlpha+1], v[vgprValuC+23] // *= alpha ( Cr += -Ai * Ci )
v_mul_f32 v[vgprValuC+23], s[sgprAlpha], v[vgprValuC+23] // *= alpha ( Ci = Ar * Ci)
_v_mac_f32 v[vgprValuC+23], s[sgprAlpha+1], v11    // *= alpha ( Ci += Ai * Cr_backup )
s_waitcnt vmcnt(0)                                 // wait C

/* apply mask, calc new C and issue writes */
s_mov_b64 exec, s[24:25]                           // sgprs -> exec
_v_mac_f32 v[vgprValuC+16], v14, s[sgprBeta]       // finalSum Cr += old Cr * Br
_v_mac_f32 v[vgprValuC+16], v15, -s[sgprBeta+1]    // finalSum Cr += old Ci * -Bi
_v_mac_f32 v[vgprValuC+17], v15, s[sgprBeta]       // finalSum Ci += old Ci * Br
_v_mac_f32 v[vgprValuC+17], v14, s[sgprBeta+1]     // finalSum Ci += old Cr * Bi
_global_store_b64 v[12:13], v[16:17], off          // store D
s_mov_b64 exec, s[26:27]                           // sgprs -> exec
_v_mac_f32 v[vgprValuC+22], v20, s[sgprBeta]       // finalSum Cr += old Cr * Br
_v_mac_f32 v[vgprValuC+22], v21, -s[sgprBeta+1]    // finalSum Cr += old Ci * -Bi
_v_mac_f32 v[vgprValuC+23], v21, s[sgprBeta]       // finalSum Ci += old Ci * Br
_v_mac_f32 v[vgprValuC+23], v20, s[sgprBeta+1]     // finalSum Ci += old Cr * Bi
_global_store_b64 v[18:19], v[22:23], off          // store D
s_mov_b64 exec, -1                                 // full mask -> exec
s_nop 0                                            // 1 wait state required when next inst writes vgprs held by previous dwordx4 store inst
/* optSingleColVgpr=0 optSharedColVgpr=0 optSGPRUsage=None optSrdIncForRow=0 */

/******************************************/
/* Global Write Alpha Beta Edge Batch #1 (d1,d0,vc1,vc0) = */
/*    (0,0,1,0:vw1); (0,0,1,1:vw1)        */
/******************************************/

/* calc coords, apply mask, and issue loads (if necessary) */
/* (d1,vc1,d0,vc0)=(0,1,0,0) */
_v_add_co_u32 v1, vcc, v1, 1                       // coord1.1: coord1Vgpr += d1*sg1*VW + vc1
GLOBAL_OFFSET_C 12, 0, 1, 8
v_mov_b32 v8, v12                                  // temp store offset 0
v_mov_b32 v9, v13                                  // temp store offset 1
v_cmp_lt_u32 s[20:21], v0, s[sgprSizesFree+0]      // coord0 < size0
v_cmp_lt_u32 s[22:23], v1, s[sgprSizesFree+1]      // coord1 < size1
s_and_b64 s[24:25], s[20:21], s[22:23]             // in0 && in1
s_mov_b64 exec, s[24:25]                           // sgprs -> exec
_v_add_co_u32 v12, vcc, v4, v8                     // addrVgpr = C + index*bytes (lo)
_v_addc_co_u32 v13, vcc, v5, v9, vcc               // addrVgpr = C + index*bytes (hi)
_global_load_b64 v[14:15], v[12:13], off, offset:0 // load C for beta calc
GLOBAL_OFFSET_D 12, 0, 1, 8
v_mov_b32 v8, v12                                  // temp store offset 0
v_mov_b32 v9, v13                                  // temp store offset 1
v_cmp_lt_u32 s[20:21], v0, s[sgprSizesFree+0]      // coord0 < size0
v_cmp_lt_u32 s[22:23], v1, s[sgprSizesFree+1]      // coord1 < size1
s_and_b64 s[24:25], s[20:21], s[22:23]             // in0 && in1
s_mov_b64 exec, s[24:25]                           // sgprs -> exec
_v_add_co_u32 v12, vcc, v2, v8                     // addrVgpr = D + index*bytes (lo)
_v_addc_co_u32 v13, vcc, v3, v9, vcc               // addrVgpr = D + index*bytes (hi)
s_mov_b64 exec, -1                                 // full mask -1 -> exec
/* (d1,vc1,d0,vc0)=(0,1,0,1) */
_v_add_co_u32 v6, vcc, v0, 1                       // coord0.1: coord0 += d0*sg0*VW + vc0
GLOBAL_OFFSET_C 18, 6, 1, 8
v_mov_b32 v8, v18                                  // temp store offset 0
v_mov_b32 v9, v19                                  // temp store offset 1
v_cmp_lt_u32 s[20:21], v6, s[sgprSizesFree+0]      // coord0 < size0
v_cmp_lt_u32 s[22:23], v1, s[sgprSizesFree+1]      // coord1 < size1
s_and_b64 s[26:27], s[20:21], s[22:23]             // in0 && in1
s_mov_b64 exec, s[26:27]                           // sgprs -> exec
_v_add_co_u32 v18, vcc, v4, v8                     // addrVgpr = C + index*bytes (lo)
_v_addc_co_u32 v19, vcc, v5, v9, vcc               // addrVgpr = C + index*bytes (hi)
_global_load_b64 v[20:21], v[18:19], off, offset:0 // load C for beta calc
GLOBAL_OFFSET_D 18, 6, 1, 8
v_mov_b32 v8, v18                                  // temp store offset 0
v_mov_b32 v9, v19                                  // temp store offset 1
v_cmp_lt_u32 s[20:21], v6, s[sgprSizesFree+0]      // coord0 < size0
v_cmp_lt_u32 s[22:23], v1, s[sgprSizesFree+1]      // coord1 < size1
s_and_b64 s[26:27], s[20:21], s[22:23]             // in0 && in1
s_mov_b64 exec, s[26:27]                           // sgprs -> exec
_v_add_co_u32 v18, vcc, v2, v8                     // addrVgpr = D + index*bytes (lo)
_v_addc_co_u32 v19, vcc, v3, v9, vcc               // addrVgpr = D + index*bytes (hi)
s_mov_b64 exec, -1                                 // full mask -1 -> exec
v_accvgpr_read_b32 v[vgprValuC+16], acc1 // copy acc to vreg[4]
v_accvgpr_read_b32 v[vgprValuC+17], acc33 // copy acc to vreg[5]
v_accvgpr_read_b32 v[vgprValuC+22], acc5 // copy acc to vreg[6]
v_accvgpr_read_b32 v[vgprValuC+23], acc37 // copy acc to vreg[7]
s_nop 1                                            // 2 wait states required before reading vgpr

/* rC *= alpha batchElements=[(0, 0, 1, 0), (0, 0, 1, 1)] */
v_mov_b32 v11, v[vgprValuC+16]                     // store Cr
v_mul_f32 v[vgprValuC+16], s[sgprAlpha], v[vgprValuC+16] // *= alpha ( Cr = Ar * Cr)
_v_mac_f32 v[vgprValuC+16], -s[sgprAlpha+1], v[vgprValuC+17] // *= alpha ( Cr += -Ai * Ci )
v_mul_f32 v[vgprValuC+17], s[sgprAlpha], v[vgprValuC+17] // *= alpha ( Ci = Ar * Ci)
_v_mac_f32 v[vgprValuC+17], s[sgprAlpha+1], v11    // *= alpha ( Ci += Ai * Cr_backup )
v_mov_b32 v11, v[vgprValuC+22]                     // store Cr
v_mul_f32 v[vgprValuC+22], s[sgprAlpha], v[vgprValuC+22] // *= alpha ( Cr = Ar * Cr)
_v_mac_f32 v[vgprValuC+22], -s[sgprAlpha+1], v[vgprValuC+23] // *= alpha ( Cr += -Ai * Ci )
v_mul_f32 v[vgprValuC+23], s[sgprAlpha], v[vgprValuC+23] // *= alpha ( Ci = Ar * Ci)
_v_mac_f32 v[vgprValuC+23], s[sgprAlpha+1], v11    // *= alpha ( Ci += Ai * Cr_backup )
s_waitcnt vmcnt(0)                                 // wait C

/* apply mask, calc new C and issue writes */
s_mov_b64 exec, s[24:25]                           // sgprs -> exec
_v_mac_f32 v[vgprValuC+16], v14, s[sgprBeta]       // finalSum Cr += old Cr * Br
_v_mac_f32 v[vgprValuC+16], v15, -s[sgprBeta+1]    // finalSum Cr += old Ci * -Bi
_v_mac_f32 v[vgprValuC+17], v15, s[sgprBeta]       // finalSum Ci += old Ci * Br
_v_mac_f32 v[vgprValuC+17], v14, s[sgprBeta+1]     // finalSum Ci += old Cr * Bi
_global_store_b64 v[12:13], v[16:17], off          // store D
s_mov_b64 exec, s[26:27]                           // sgprs -> exec
_v_mac_f32 v[vgprValuC+22], v20, s[sgprBeta]       // finalSum Cr += old Cr * Br
_v_mac_f32 v[vgprValuC+22], v21, -s[sgprBeta+1]    // finalSum Cr += old Ci * -Bi
_v_mac_f32 v[vgprValuC+23], v21, s[sgprBeta]       // finalSum Ci += old Ci * Br
_v_mac_f32 v[vgprValuC+23], v20, s[sgprBeta+1]     // finalSum Ci += old Cr * Bi
_global_store_b64 v[18:19], v[22:23], off          // store D
s_mov_b64 exec, -1                                 // full mask -> exec
s_nop 0                                            // 1 wait state required when next inst writes vgprs held by previous dwordx4 store inst
/* optSingleColVgpr=0 optSharedColVgpr=0 optSGPRUsage=None optSrdIncForRow=0 */

/******************************************/
/* Global Write Alpha Beta Edge Batch #2 (d1,d0,vc1,vc0) = */
/*    (0,0,2,0:vw1); (0,0,2,1:vw1)        */
/******************************************/

/* calc coords, apply mask, and issue loads (if necessary) */
/* (d1,vc1,d0,vc0)=(0,2,0,0) */
_v_add_co_u32 v1, vcc, v1, 1                       // coord1.1: coord1Vgpr += d1*sg1*VW + vc1
GLOBAL_OFFSET_C 12, 0, 1, 8
v_mov_b32 v8, v12                                  // temp store offset 0
v_mov_b32 v9, v13                                  // temp store offset 1
v_cmp_lt_u32 s[20:21], v0, s[sgprSizesFree+0]      // coord0 < size0
v_cmp_lt_u32 s[22:23], v1, s[sgprSizesFree+1]      // coord1 < size1
s_and_b64 s[24:25], s[20:21], s[22:23]             // in0 && in1
s_mov_b64 exec, s[24:25]                           // sgprs -> exec
_v_add_co_u32 v12, vcc, v4, v8                     // addrVgpr = C + index*bytes (lo)
_v_addc_co_u32 v13, vcc, v5, v9, vcc               // addrVgpr = C + index*bytes (hi)
_global_load_b64 v[14:15], v[12:13], off, offset:0 // load C for beta calc
GLOBAL_OFFSET_D 12, 0, 1, 8
v_mov_b32 v8, v12                                  // temp store offset 0
v_mov_b32 v9, v13                                  // temp store offset 1
v_cmp_lt_u32 s[20:21], v0, s[sgprSizesFree+0]      // coord0 < size0
v_cmp_lt_u32 s[22:23], v1, s[sgprSizesFree+1]      // coord1 < size1
s_and_b64 s[24:25], s[20:21], s[22:23]             // in0 && in1
s_mov_b64 exec, s[24:25]                           // sgprs -> exec
_v_add_co_u32 v12, vcc, v2, v8                     // addrVgpr = D + index*bytes (lo)
_v_addc_co_u32 v13, vcc, v3, v9, vcc               // addrVgpr = D + index*bytes (hi)
s_mov_b64 exec, -1                                 // full mask -1 -> exec
/* (d1,vc1,d0,vc0)=(0,2,0,1) */
_v_add_co_u32 v6, vcc, v0, 1                       // coord0.1: coord0 += d0*sg0*VW + vc0
GLOBAL_OFFSET_C 18, 6, 1, 8
v_mov_b32 v8, v18                                  // temp store offset 0
v_mov_b32 v9, v19                                  // temp store offset 1
v_cmp_lt_u32 s[20:21], v6, s[sgprSizesFree+0]      // coord0 < size0
v_cmp_lt_u32 s[22:23], v1, s[sgprSizesFree+1]      // coord1 < size1
s_and_b64 s[26:27], s[20:21], s[22:23]             // in0 && in1
s_mov_b64 exec, s[26:27]                           // sgprs -> exec
_v_add_co_u32 v18, vcc, v4, v8                     // addrVgpr = C + index*bytes (lo)
_v_addc_co_u32 v19, vcc, v5, v9, vcc               // addrVgpr = C + index*bytes (hi)
_global_load_b64 v[20:21], v[18:19], off, offset:0 // load C for beta calc
GLOBAL_OFFSET_D 18, 6, 1, 8
v_mov_b32 v8, v18                                  // temp store offset 0
v_mov_b32 v9, v19                                  // temp store offset 1
v_cmp_lt_u32 s[20:21], v6, s[sgprSizesFree+0]      // coord0 < size0
v_cmp_lt_u32 s[22:23], v1, s[sgprSizesFree+1]      // coord1 < size1
s_and_b64 s[26:27], s[20:21], s[22:23]             // in0 && in1
s_mov_b64 exec, s[26:27]                           // sgprs -> exec
_v_add_co_u32 v18, vcc, v2, v8                     // addrVgpr = D + index*bytes (lo)
_v_addc_co_u32 v19, vcc, v3, v9, vcc               // addrVgpr = D + index*bytes (hi)
s_mov_b64 exec, -1                                 // full mask -1 -> exec
v_accvgpr_read_b32 v[vgprValuC+16], acc2 // copy acc to vreg[8]
v_accvgpr_read_b32 v[vgprValuC+17], acc34 // copy acc to vreg[9]
v_accvgpr_read_b32 v[vgprValuC+22], acc6 // copy acc to vreg[10]
v_accvgpr_read_b32 v[vgprValuC+23], acc38 // copy acc to vreg[11]
s_nop 1                                            // 2 wait states required before reading vgpr

/* rC *= alpha batchElements=[(0, 0, 2, 0), (0, 0, 2, 1)] */
v_mov_b32 v11, v[vgprValuC+16]                     // store Cr
v_mul_f32 v[vgprValuC+16], s[sgprAlpha], v[vgprValuC+16] // *= alpha ( Cr = Ar * Cr)
_v_mac_f32 v[vgprValuC+16], -s[sgprAlpha+1], v[vgprValuC+17] // *= alpha ( Cr += -Ai * Ci )
v_mul_f32 v[vgprValuC+17], s[sgprAlpha], v[vgprValuC+17] // *= alpha ( Ci = Ar * Ci)
_v_mac_f32 v[vgprValuC+17], s[sgprAlpha+1], v11    // *= alpha ( Ci += Ai * Cr_backup )
v_mov_b32 v11, v[vgprValuC+22]                     // store Cr
v_mul_f32 v[vgprValuC+22], s[sgprAlpha], v[vgprValuC+22] // *= alpha ( Cr = Ar * Cr)
_v_mac_f32 v[vgprValuC+22], -s[sgprAlpha+1], v[vgprValuC+23] // *= alpha ( Cr += -Ai * Ci )
v_mul_f32 v[vgprValuC+23], s[sgprAlpha], v[vgprValuC+23] // *= alpha ( Ci = Ar * Ci)
_v_mac_f32 v[vgprValuC+23], s[sgprAlpha+1], v11    // *= alpha ( Ci += Ai * Cr_backup )
s_waitcnt vmcnt(0)                                 // wait C

/* apply mask, calc new C and issue writes */
s_mov_b64 exec, s[24:25]                           // sgprs -> exec
_v_mac_f32 v[vgprValuC+16], v14, s[sgprBeta]       // finalSum Cr += old Cr * Br
_v_mac_f32 v[vgprValuC+16], v15, -s[sgprBeta+1]    // finalSum Cr += old Ci * -Bi
_v_mac_f32 v[vgprValuC+17], v15, s[sgprBeta]       // finalSum Ci += old Ci * Br
_v_mac_f32 v[vgprValuC+17], v14, s[sgprBeta+1]     // finalSum Ci += old Cr * Bi
_global_store_b64 v[12:13], v[16:17], off          // store D
s_mov_b64 exec, s[26:27]                           // sgprs -> exec
_v_mac_f32 v[vgprValuC+22], v20, s[sgprBeta]       // finalSum Cr += old Cr * Br
_v_mac_f32 v[vgprValuC+22], v21, -s[sgprBeta+1]    // finalSum Cr += old Ci * -Bi
_v_mac_f32 v[vgprValuC+23], v21, s[sgprBeta]       // finalSum Ci += old Ci * Br
_v_mac_f32 v[vgprValuC+23], v20, s[sgprBeta+1]     // finalSum Ci += old Cr * Bi
_global_store_b64 v[18:19], v[22:23], off          // store D
s_mov_b64 exec, -1                                 // full mask -> exec
s_nop 0                                            // 1 wait state required when next inst writes vgprs held by previous dwordx4 store inst
/* optSingleColVgpr=0 optSharedColVgpr=0 optSGPRUsage=None optSrdIncForRow=0 */

/******************************************/
/* Global Write Alpha Beta Edge Batch #3 (d1,d0,vc1,vc0) = */
/*    (0,0,3,0:vw1); (0,0,3,1:vw1)        */
/******************************************/

/* calc coords, apply mask, and issue loads (if necessary) */
/* (d1,vc1,d0,vc0)=(0,3,0,0) */
_v_add_co_u32 v1, vcc, v1, 1                       // coord1.1: coord1Vgpr += d1*sg1*VW + vc1
GLOBAL_OFFSET_C 12, 0, 1, 8
v_mov_b32 v8, v12                                  // temp store offset 0
v_mov_b32 v9, v13                                  // temp store offset 1
v_cmp_lt_u32 s[20:21], v0, s[sgprSizesFree+0]      // coord0 < size0
v_cmp_lt_u32 s[22:23], v1, s[sgprSizesFree+1]      // coord1 < size1
s_and_b64 s[24:25], s[20:21], s[22:23]             // in0 && in1
s_mov_b64 exec, s[24:25]                           // sgprs -> exec
_v_add_co_u32 v12, vcc, v4, v8                     // addrVgpr = C + index*bytes (lo)
_v_addc_co_u32 v13, vcc, v5, v9, vcc               // addrVgpr = C + index*bytes (hi)
_global_load_b64 v[14:15], v[12:13], off, offset:0 // load C for beta calc
GLOBAL_OFFSET_D 12, 0, 1, 8
v_mov_b32 v8, v12                                  // temp store offset 0
v_mov_b32 v9, v13                                  // temp store offset 1
v_cmp_lt_u32 s[20:21], v0, s[sgprSizesFree+0]      // coord0 < size0
v_cmp_lt_u32 s[22:23], v1, s[sgprSizesFree+1]      // coord1 < size1
s_and_b64 s[24:25], s[20:21], s[22:23]             // in0 && in1
s_mov_b64 exec, s[24:25]                           // sgprs -> exec
_v_add_co_u32 v12, vcc, v2, v8                     // addrVgpr = D + index*bytes (lo)
_v_addc_co_u32 v13, vcc, v3, v9, vcc               // addrVgpr = D + index*bytes (hi)
s_mov_b64 exec, -1                                 // full mask -1 -> exec
/* (d1,vc1,d0,vc0)=(0,3,0,1) */
_v_add_co_u32 v6, vcc, v0, 1                       // coord0.1: coord0 += d0*sg0*VW + vc0
GLOBAL_OFFSET_C 18, 6, 1, 8
v_mov_b32 v8, v18                                  // temp store offset 0
v_mov_b32 v9, v19                                  // temp store offset 1
v_cmp_lt_u32 s[20:21], v6, s[sgprSizesFree+0]      // coord0 < size0
v_cmp_lt_u32 s[22:23], v1, s[sgprSizesFree+1]      // coord1 < size1
s_and_b64 s[26:27], s[20:21], s[22:23]             // in0 && in1
s_mov_b64 exec, s[26:27]                           // sgprs -> exec
_v_add_co_u32 v18, vcc, v4, v8                     // addrVgpr = C + index*bytes (lo)
_v_addc_co_u32 v19, vcc, v5, v9, vcc               // addrVgpr = C + index*bytes (hi)
_global_load_b64 v[20:21], v[18:19], off, offset:0 // load C for beta calc
GLOBAL_OFFSET_D 18, 6, 1, 8
v_mov_b32 v8, v18                                  // temp store offset 0
v_mov_b32 v9, v19                                  // temp store offset 1
v_cmp_lt_u32 s[20:21], v6, s[sgprSizesFree+0]      // coord0 < size0
v_cmp_lt_u32 s[22:23], v1, s[sgprSizesFree+1]      // coord1 < size1
s_and_b64 s[26:27], s[20:21], s[22:23]             // in0 && in1
s_mov_b64 exec, s[26:27]                           // sgprs -> exec
_v_add_co_u32 v18, vcc, v2, v8                     // addrVgpr = D + index*bytes (lo)
_v_addc_co_u32 v19, vcc, v3, v9, vcc               // addrVgpr = D + index*bytes (hi)
s_mov_b64 exec, -1                                 // full mask -1 -> exec
v_accvgpr_read_b32 v[vgprValuC+16], acc3 // copy acc to vreg[12]
v_accvgpr_read_b32 v[vgprValuC+17], acc35 // copy acc to vreg[13]
v_accvgpr_read_b32 v[vgprValuC+22], acc7 // copy acc to vreg[14]
v_accvgpr_read_b32 v[vgprValuC+23], acc39 // copy acc to vreg[15]
s_nop 1                                            // 2 wait states required before reading vgpr

/* rC *= alpha batchElements=[(0, 0, 3, 0), (0, 0, 3, 1)] */
v_mov_b32 v11, v[vgprValuC+16]                     // store Cr
v_mul_f32 v[vgprValuC+16], s[sgprAlpha], v[vgprValuC+16] // *= alpha ( Cr = Ar * Cr)
_v_mac_f32 v[vgprValuC+16], -s[sgprAlpha+1], v[vgprValuC+17] // *= alpha ( Cr += -Ai * Ci )
v_mul_f32 v[vgprValuC+17], s[sgprAlpha], v[vgprValuC+17] // *= alpha ( Ci = Ar * Ci)
_v_mac_f32 v[vgprValuC+17], s[sgprAlpha+1], v11    // *= alpha ( Ci += Ai * Cr_backup )
v_mov_b32 v11, v[vgprValuC+22]                     // store Cr
v_mul_f32 v[vgprValuC+22], s[sgprAlpha], v[vgprValuC+22] // *= alpha ( Cr = Ar * Cr)
_v_mac_f32 v[vgprValuC+22], -s[sgprAlpha+1], v[vgprValuC+23] // *= alpha ( Cr += -Ai * Ci )
v_mul_f32 v[vgprValuC+23], s[sgprAlpha], v[vgprValuC+23] // *= alpha ( Ci = Ar * Ci)
_v_mac_f32 v[vgprValuC+23], s[sgprAlpha+1], v11    // *= alpha ( Ci += Ai * Cr_backup )
s_waitcnt vmcnt(0)                                 // wait C

/* apply mask, calc new C and issue writes */
s_mov_b64 exec, s[24:25]                           // sgprs -> exec
_v_mac_f32 v[vgprValuC+16], v14, s[sgprBeta]       // finalSum Cr += old Cr * Br
_v_mac_f32 v[vgprValuC+16], v15, -s[sgprBeta+1]    // finalSum Cr += old Ci * -Bi
_v_mac_f32 v[vgprValuC+17], v15, s[sgprBeta]       // finalSum Ci += old Ci * Br
_v_mac_f32 v[vgprValuC+17], v14, s[sgprBeta+1]     // finalSum Ci += old Cr * Bi
_global_store_b64 v[12:13], v[16:17], off          // store D
s_mov_b64 exec, s[26:27]                           // sgprs -> exec
_v_mac_f32 v[vgprValuC+22], v20, s[sgprBeta]       // finalSum Cr += old Cr * Br
_v_mac_f32 v[vgprValuC+22], v21, -s[sgprBeta+1]    // finalSum Cr += old Ci * -Bi
_v_mac_f32 v[vgprValuC+23], v21, s[sgprBeta]       // finalSum Ci += old Ci * Br
_v_mac_f32 v[vgprValuC+23], v20, s[sgprBeta+1]     // finalSum Ci += old Cr * Bi
_global_store_b64 v[18:19], v[22:23], off          // store D
s_mov_b64 exec, -1                                 // full mask -> exec
s_nop 0                                            // 1 wait state required when next inst writes vgprs held by previous dwordx4 store inst
/* optSingleColVgpr=0 optSharedColVgpr=0 optSGPRUsage=None optSrdIncForRow=0 */

/******************************************/
/* Global Write Alpha Beta Edge Batch #4 (d1,d0,vc1,vc0) = */
/*    (1,0,0,0:vw1); (1,0,0,1:vw1)        */
/******************************************/

/* calc coords, apply mask, and issue loads (if necessary) */
/* (d1,vc1,d0,vc0)=(1,0,0,0) */
_v_add_co_u32 v1, vcc, v1, 13                      // coord1.1: coord1Vgpr += d1*sg1*VW + vc1
GLOBAL_OFFSET_C 12, 0, 1, 8
v_mov_b32 v8, v12                                  // temp store offset 0
v_mov_b32 v9, v13                                  // temp store offset 1
v_cmp_lt_u32 s[20:21], v0, s[sgprSizesFree+0]      // coord0 < size0
v_cmp_lt_u32 s[22:23], v1, s[sgprSizesFree+1]      // coord1 < size1
s_and_b64 s[24:25], s[20:21], s[22:23]             // in0 && in1
s_mov_b64 exec, s[24:25]                           // sgprs -> exec
_v_add_co_u32 v12, vcc, v4, v8                     // addrVgpr = C + index*bytes (lo)
_v_addc_co_u32 v13, vcc, v5, v9, vcc               // addrVgpr = C + index*bytes (hi)
_global_load_b64 v[14:15], v[12:13], off, offset:0 // load C for beta calc
GLOBAL_OFFSET_D 12, 0, 1, 8
v_mov_b32 v8, v12                                  // temp store offset 0
v_mov_b32 v9, v13                                  // temp store offset 1
v_cmp_lt_u32 s[20:21], v0, s[sgprSizesFree+0]      // coord0 < size0
v_cmp_lt_u32 s[22:23], v1, s[sgprSizesFree+1]      // coord1 < size1
s_and_b64 s[24:25], s[20:21], s[22:23]             // in0 && in1
s_mov_b64 exec, s[24:25]                           // sgprs -> exec
_v_add_co_u32 v12, vcc, v2, v8                     // addrVgpr = D + index*bytes (lo)
_v_addc_co_u32 v13, vcc, v3, v9, vcc               // addrVgpr = D + index*bytes (hi)
s_mov_b64 exec, -1                                 // full mask -1 -> exec
/* (d1,vc1,d0,vc0)=(1,0,0,1) */
_v_add_co_u32 v6, vcc, v0, 1                       // coord0.1: coord0 += d0*sg0*VW + vc0
GLOBAL_OFFSET_C 18, 6, 1, 8
v_mov_b32 v8, v18                                  // temp store offset 0
v_mov_b32 v9, v19                                  // temp store offset 1
v_cmp_lt_u32 s[20:21], v6, s[sgprSizesFree+0]      // coord0 < size0
v_cmp_lt_u32 s[22:23], v1, s[sgprSizesFree+1]      // coord1 < size1
s_and_b64 s[26:27], s[20:21], s[22:23]             // in0 && in1
s_mov_b64 exec, s[26:27]                           // sgprs -> exec
_v_add_co_u32 v18, vcc, v4, v8                     // addrVgpr = C + index*bytes (lo)
_v_addc_co_u32 v19, vcc, v5, v9, vcc               // addrVgpr = C + index*bytes (hi)
_global_load_b64 v[20:21], v[18:19], off, offset:0 // load C for beta calc
GLOBAL_OFFSET_D 18, 6, 1, 8
v_mov_b32 v8, v18                                  // temp store offset 0
v_mov_b32 v9, v19                                  // temp store offset 1
v_cmp_lt_u32 s[20:21], v6, s[sgprSizesFree+0]      // coord0 < size0
v_cmp_lt_u32 s[22:23], v1, s[sgprSizesFree+1]      // coord1 < size1
s_and_b64 s[26:27], s[20:21], s[22:23]             // in0 && in1
s_mov_b64 exec, s[26:27]                           // sgprs -> exec
_v_add_co_u32 v18, vcc, v2, v8                     // addrVgpr = D + index*bytes (lo)
_v_addc_co_u32 v19, vcc, v3, v9, vcc               // addrVgpr = D + index*bytes (hi)
s_mov_b64 exec, -1                                 // full mask -1 -> exec
v_accvgpr_read_b32 v[vgprValuC+16], acc8 // copy acc to vreg[16]
v_accvgpr_read_b32 v[vgprValuC+17], acc40 // copy acc to vreg[17]
v_accvgpr_read_b32 v[vgprValuC+22], acc12 // copy acc to vreg[18]
v_accvgpr_read_b32 v[vgprValuC+23], acc44 // copy acc to vreg[19]
s_nop 1                                            // 2 wait states required before reading vgpr

/* rC *= alpha batchElements=[(1, 0, 0, 0), (1, 0, 0, 1)] */
v_mov_b32 v11, v[vgprValuC+16]                     // store Cr
v_mul_f32 v[vgprValuC+16], s[sgprAlpha], v[vgprValuC+16] // *= alpha ( Cr = Ar * Cr)
_v_mac_f32 v[vgprValuC+16], -s[sgprAlpha+1], v[vgprValuC+17] // *= alpha ( Cr += -Ai * Ci )
v_mul_f32 v[vgprValuC+17], s[sgprAlpha], v[vgprValuC+17] // *= alpha ( Ci = Ar * Ci)
_v_mac_f32 v[vgprValuC+17], s[sgprAlpha+1], v11    // *= alpha ( Ci += Ai * Cr_backup )
v_mov_b32 v11, v[vgprValuC+22]                     // store Cr
v_mul_f32 v[vgprValuC+22], s[sgprAlpha], v[vgprValuC+22] // *= alpha ( Cr = Ar * Cr)
_v_mac_f32 v[vgprValuC+22], -s[sgprAlpha+1], v[vgprValuC+23] // *= alpha ( Cr += -Ai * Ci )
v_mul_f32 v[vgprValuC+23], s[sgprAlpha], v[vgprValuC+23] // *= alpha ( Ci = Ar * Ci)
_v_mac_f32 v[vgprValuC+23], s[sgprAlpha+1], v11    // *= alpha ( Ci += Ai * Cr_backup )
s_waitcnt vmcnt(0)                                 // wait C

/* apply mask, calc new C and issue writes */
s_mov_b64 exec, s[24:25]                           // sgprs -> exec
_v_mac_f32 v[vgprValuC+16], v14, s[sgprBeta]       // finalSum Cr += old Cr * Br
_v_mac_f32 v[vgprValuC+16], v15, -s[sgprBeta+1]    // finalSum Cr += old Ci * -Bi
_v_mac_f32 v[vgprValuC+17], v15, s[sgprBeta]       // finalSum Ci += old Ci * Br
_v_mac_f32 v[vgprValuC+17], v14, s[sgprBeta+1]     // finalSum Ci += old Cr * Bi
_global_store_b64 v[12:13], v[16:17], off          // store D
s_mov_b64 exec, s[26:27]                           // sgprs -> exec
_v_mac_f32 v[vgprValuC+22], v20, s[sgprBeta]       // finalSum Cr += old Cr * Br
_v_mac_f32 v[vgprValuC+22], v21, -s[sgprBeta+1]    // finalSum Cr += old Ci * -Bi
_v_mac_f32 v[vgprValuC+23], v21, s[sgprBeta]       // finalSum Ci += old Ci * Br
_v_mac_f32 v[vgprValuC+23], v20, s[sgprBeta+1]     // finalSum Ci += old Cr * Bi
_global_store_b64 v[18:19], v[22:23], off          // store D
s_mov_b64 exec, -1                                 // full mask -> exec
s_nop 0                                            // 1 wait state required when next inst writes vgprs held by previous dwordx4 store inst
/* optSingleColVgpr=0 optSharedColVgpr=0 optSGPRUsage=None optSrdIncForRow=0 */

/******************************************/
/* Global Write Alpha Beta Edge Batch #5 (d1,d0,vc1,vc0) = */
/*    (1,0,1,0:vw1); (1,0,1,1:vw1)        */
/******************************************/

/* calc coords, apply mask, and issue loads (if necessary) */
/* (d1,vc1,d0,vc0)=(1,1,0,0) */
_v_add_co_u32 v1, vcc, v1, 1                       // coord1.1: coord1Vgpr += d1*sg1*VW + vc1
GLOBAL_OFFSET_C 12, 0, 1, 8
v_mov_b32 v8, v12                                  // temp store offset 0
v_mov_b32 v9, v13                                  // temp store offset 1
v_cmp_lt_u32 s[20:21], v0, s[sgprSizesFree+0]      // coord0 < size0
v_cmp_lt_u32 s[22:23], v1, s[sgprSizesFree+1]      // coord1 < size1
s_and_b64 s[24:25], s[20:21], s[22:23]             // in0 && in1
s_mov_b64 exec, s[24:25]                           // sgprs -> exec
_v_add_co_u32 v12, vcc, v4, v8                     // addrVgpr = C + index*bytes (lo)
_v_addc_co_u32 v13, vcc, v5, v9, vcc               // addrVgpr = C + index*bytes (hi)
_global_load_b64 v[14:15], v[12:13], off, offset:0 // load C for beta calc
GLOBAL_OFFSET_D 12, 0, 1, 8
v_mov_b32 v8, v12                                  // temp store offset 0
v_mov_b32 v9, v13                                  // temp store offset 1
v_cmp_lt_u32 s[20:21], v0, s[sgprSizesFree+0]      // coord0 < size0
v_cmp_lt_u32 s[22:23], v1, s[sgprSizesFree+1]      // coord1 < size1
s_and_b64 s[24:25], s[20:21], s[22:23]             // in0 && in1
s_mov_b64 exec, s[24:25]                           // sgprs -> exec
_v_add_co_u32 v12, vcc, v2, v8                     // addrVgpr = D + index*bytes (lo)
_v_addc_co_u32 v13, vcc, v3, v9, vcc               // addrVgpr = D + index*bytes (hi)
s_mov_b64 exec, -1                                 // full mask -1 -> exec
/* (d1,vc1,d0,vc0)=(1,1,0,1) */
_v_add_co_u32 v6, vcc, v0, 1                       // coord0.1: coord0 += d0*sg0*VW + vc0
GLOBAL_OFFSET_C 18, 6, 1, 8
v_mov_b32 v8, v18                                  // temp store offset 0
v_mov_b32 v9, v19                                  // temp store offset 1
v_cmp_lt_u32 s[20:21], v6, s[sgprSizesFree+0]      // coord0 < size0
v_cmp_lt_u32 s[22:23], v1, s[sgprSizesFree+1]      // coord1 < size1
s_and_b64 s[26:27], s[20:21], s[22:23]             // in0 && in1
s_mov_b64 exec, s[26:27]                           // sgprs -> exec
_v_add_co_u32 v18, vcc, v4, v8                     // addrVgpr = C + index*bytes (lo)
_v_addc_co_u32 v19, vcc, v5, v9, vcc               // addrVgpr = C + index*bytes (hi)
_global_load_b64 v[20:21], v[18:19], off, offset:0 // load C for beta calc
GLOBAL_OFFSET_D 18, 6, 1, 8
v_mov_b32 v8, v18                                  // temp store offset 0
v_mov_b32 v9, v19                                  // temp store offset 1
v_cmp_lt_u32 s[20:21], v6, s[sgprSizesFree+0]      // coord0 < size0
v_cmp_lt_u32 s[22:23], v1, s[sgprSizesFree+1]      // coord1 < size1
s_and_b64 s[26:27], s[20:21], s[22:23]             // in0 && in1
s_mov_b64 exec, s[26:27]                           // sgprs -> exec
_v_add_co_u32 v18, vcc, v2, v8                     // addrVgpr = D + index*bytes (lo)
_v_addc_co_u32 v19, vcc, v3, v9, vcc               // addrVgpr = D + index*bytes (hi)
s_mov_b64 exec, -1                                 // full mask -1 -> exec
v_accvgpr_read_b32 v[vgprValuC+16], acc9 // copy acc to vreg[20]
v_accvgpr_read_b32 v[vgprValuC+17], acc41 // copy acc to vreg[21]
v_accvgpr_read_b32 v[vgprValuC+22], acc13 // copy acc to vreg[22]
v_accvgpr_read_b32 v[vgprValuC+23], acc45 // copy acc to vreg[23]
s_nop 1                                            // 2 wait states required before reading vgpr

/* rC *= alpha batchElements=[(1, 0, 1, 0), (1, 0, 1, 1)] */
v_mov_b32 v11, v[vgprValuC+16]                     // store Cr
v_mul_f32 v[vgprValuC+16], s[sgprAlpha], v[vgprValuC+16] // *= alpha ( Cr = Ar * Cr)
_v_mac_f32 v[vgprValuC+16], -s[sgprAlpha+1], v[vgprValuC+17] // *= alpha ( Cr += -Ai * Ci )
v_mul_f32 v[vgprValuC+17], s[sgprAlpha], v[vgprValuC+17] // *= alpha ( Ci = Ar * Ci)
_v_mac_f32 v[vgprValuC+17], s[sgprAlpha+1], v11    // *= alpha ( Ci += Ai * Cr_backup )
v_mov_b32 v11, v[vgprValuC+22]                     // store Cr
v_mul_f32 v[vgprValuC+22], s[sgprAlpha], v[vgprValuC+22] // *= alpha ( Cr = Ar * Cr)
_v_mac_f32 v[vgprValuC+22], -s[sgprAlpha+1], v[vgprValuC+23] // *= alpha ( Cr += -Ai * Ci )
v_mul_f32 v[vgprValuC+23], s[sgprAlpha], v[vgprValuC+23] // *= alpha ( Ci = Ar * Ci)
_v_mac_f32 v[vgprValuC+23], s[sgprAlpha+1], v11    // *= alpha ( Ci += Ai * Cr_backup )
s_waitcnt vmcnt(0)                                 // wait C

/* apply mask, calc new C and issue writes */
s_mov_b64 exec, s[24:25]                           // sgprs -> exec
_v_mac_f32 v[vgprValuC+16], v14, s[sgprBeta]       // finalSum Cr += old Cr * Br
_v_mac_f32 v[vgprValuC+16], v15, -s[sgprBeta+1]    // finalSum Cr += old Ci * -Bi
_v_mac_f32 v[vgprValuC+17], v15, s[sgprBeta]       // finalSum Ci += old Ci * Br
_v_mac_f32 v[vgprValuC+17], v14, s[sgprBeta+1]     // finalSum Ci += old Cr * Bi
_global_store_b64 v[12:13], v[16:17], off          // store D
s_mov_b64 exec, s[26:27]                           // sgprs -> exec
_v_mac_f32 v[vgprValuC+22], v20, s[sgprBeta]       // finalSum Cr += old Cr * Br
_v_mac_f32 v[vgprValuC+22], v21, -s[sgprBeta+1]    // finalSum Cr += old Ci * -Bi
_v_mac_f32 v[vgprValuC+23], v21, s[sgprBeta]       // finalSum Ci += old Ci * Br
_v_mac_f32 v[vgprValuC+23], v20, s[sgprBeta+1]     // finalSum Ci += old Cr * Bi
_global_store_b64 v[18:19], v[22:23], off          // store D
s_mov_b64 exec, -1                                 // full mask -> exec
s_nop 0                                            // 1 wait state required when next inst writes vgprs held by previous dwordx4 store inst
/* optSingleColVgpr=0 optSharedColVgpr=0 optSGPRUsage=None optSrdIncForRow=0 */

/******************************************/
/* Global Write Alpha Beta Edge Batch #6 (d1,d0,vc1,vc0) = */
/*    (1,0,2,0:vw1); (1,0,2,1:vw1)        */
/******************************************/

/* calc coords, apply mask, and issue loads (if necessary) */
/* (d1,vc1,d0,vc0)=(1,2,0,0) */
_v_add_co_u32 v1, vcc, v1, 1                       // coord1.1: coord1Vgpr += d1*sg1*VW + vc1
GLOBAL_OFFSET_C 12, 0, 1, 8
v_mov_b32 v8, v12                                  // temp store offset 0
v_mov_b32 v9, v13                                  // temp store offset 1
v_cmp_lt_u32 s[20:21], v0, s[sgprSizesFree+0]      // coord0 < size0
v_cmp_lt_u32 s[22:23], v1, s[sgprSizesFree+1]      // coord1 < size1
s_and_b64 s[24:25], s[20:21], s[22:23]             // in0 && in1
s_mov_b64 exec, s[24:25]                           // sgprs -> exec
_v_add_co_u32 v12, vcc, v4, v8                     // addrVgpr = C + index*bytes (lo)
_v_addc_co_u32 v13, vcc, v5, v9, vcc               // addrVgpr = C + index*bytes (hi)
_global_load_b64 v[14:15], v[12:13], off, offset:0 // load C for beta calc
GLOBAL_OFFSET_D 12, 0, 1, 8
v_mov_b32 v8, v12                                  // temp store offset 0
v_mov_b32 v9, v13                                  // temp store offset 1
v_cmp_lt_u32 s[20:21], v0, s[sgprSizesFree+0]      // coord0 < size0
v_cmp_lt_u32 s[22:23], v1, s[sgprSizesFree+1]      // coord1 < size1
s_and_b64 s[24:25], s[20:21], s[22:23]             // in0 && in1
s_mov_b64 exec, s[24:25]                           // sgprs -> exec
_v_add_co_u32 v12, vcc, v2, v8                     // addrVgpr = D + index*bytes (lo)
_v_addc_co_u32 v13, vcc, v3, v9, vcc               // addrVgpr = D + index*bytes (hi)
s_mov_b64 exec, -1                                 // full mask -1 -> exec
/* (d1,vc1,d0,vc0)=(1,2,0,1) */
_v_add_co_u32 v6, vcc, v0, 1                       // coord0.1: coord0 += d0*sg0*VW + vc0
GLOBAL_OFFSET_C 18, 6, 1, 8
v_mov_b32 v8, v18                                  // temp store offset 0
v_mov_b32 v9, v19                                  // temp store offset 1
v_cmp_lt_u32 s[20:21], v6, s[sgprSizesFree+0]      // coord0 < size0
v_cmp_lt_u32 s[22:23], v1, s[sgprSizesFree+1]      // coord1 < size1
s_and_b64 s[26:27], s[20:21], s[22:23]             // in0 && in1
s_mov_b64 exec, s[26:27]                           // sgprs -> exec
_v_add_co_u32 v18, vcc, v4, v8                     // addrVgpr = C + index*bytes (lo)
_v_addc_co_u32 v19, vcc, v5, v9, vcc               // addrVgpr = C + index*bytes (hi)
_global_load_b64 v[20:21], v[18:19], off, offset:0 // load C for beta calc
GLOBAL_OFFSET_D 18, 6, 1, 8
v_mov_b32 v8, v18                                  // temp store offset 0
v_mov_b32 v9, v19                                  // temp store offset 1
v_cmp_lt_u32 s[20:21], v6, s[sgprSizesFree+0]      // coord0 < size0
v_cmp_lt_u32 s[22:23], v1, s[sgprSizesFree+1]      // coord1 < size1
s_and_b64 s[26:27], s[20:21], s[22:23]             // in0 && in1
s_mov_b64 exec, s[26:27]                           // sgprs -> exec
_v_add_co_u32 v18, vcc, v2, v8                     // addrVgpr = D + index*bytes (lo)
_v_addc_co_u32 v19, vcc, v3, v9, vcc               // addrVgpr = D + index*bytes (hi)
s_mov_b64 exec, -1                                 // full mask -1 -> exec
v_accvgpr_read_b32 v[vgprValuC+16], acc10 // copy acc to vreg[24]
v_accvgpr_read_b32 v[vgprValuC+17], acc42 // copy acc to vreg[25]
v_accvgpr_read_b32 v[vgprValuC+22], acc14 // copy acc to vreg[26]
v_accvgpr_read_b32 v[vgprValuC+23], acc46 // copy acc to vreg[27]
s_nop 1                                            // 2 wait states required before reading vgpr

/* rC *= alpha batchElements=[(1, 0, 2, 0), (1, 0, 2, 1)] */
v_mov_b32 v11, v[vgprValuC+16]                     // store Cr
v_mul_f32 v[vgprValuC+16], s[sgprAlpha], v[vgprValuC+16] // *= alpha ( Cr = Ar * Cr)
_v_mac_f32 v[vgprValuC+16], -s[sgprAlpha+1], v[vgprValuC+17] // *= alpha ( Cr += -Ai * Ci )
v_mul_f32 v[vgprValuC+17], s[sgprAlpha], v[vgprValuC+17] // *= alpha ( Ci = Ar * Ci)
_v_mac_f32 v[vgprValuC+17], s[sgprAlpha+1], v11    // *= alpha ( Ci += Ai * Cr_backup )
v_mov_b32 v11, v[vgprValuC+22]                     // store Cr
v_mul_f32 v[vgprValuC+22], s[sgprAlpha], v[vgprValuC+22] // *= alpha ( Cr = Ar * Cr)
_v_mac_f32 v[vgprValuC+22], -s[sgprAlpha+1], v[vgprValuC+23] // *= alpha ( Cr += -Ai * Ci )
v_mul_f32 v[vgprValuC+23], s[sgprAlpha], v[vgprValuC+23] // *= alpha ( Ci = Ar * Ci)
_v_mac_f32 v[vgprValuC+23], s[sgprAlpha+1], v11    // *= alpha ( Ci += Ai * Cr_backup )
s_waitcnt vmcnt(0)                                 // wait C

/* apply mask, calc new C and issue writes */
s_mov_b64 exec, s[24:25]                           // sgprs -> exec
_v_mac_f32 v[vgprValuC+16], v14, s[sgprBeta]       // finalSum Cr += old Cr * Br
_v_mac_f32 v[vgprValuC+16], v15, -s[sgprBeta+1]    // finalSum Cr += old Ci * -Bi
_v_mac_f32 v[vgprValuC+17], v15, s[sgprBeta]       // finalSum Ci += old Ci * Br
_v_mac_f32 v[vgprValuC+17], v14, s[sgprBeta+1]     // finalSum Ci += old Cr * Bi
_global_store_b64 v[12:13], v[16:17], off          // store D
s_mov_b64 exec, s[26:27]                           // sgprs -> exec
_v_mac_f32 v[vgprValuC+22], v20, s[sgprBeta]       // finalSum Cr += old Cr * Br
_v_mac_f32 v[vgprValuC+22], v21, -s[sgprBeta+1]    // finalSum Cr += old Ci * -Bi
_v_mac_f32 v[vgprValuC+23], v21, s[sgprBeta]       // finalSum Ci += old Ci * Br
_v_mac_f32 v[vgprValuC+23], v20, s[sgprBeta+1]     // finalSum Ci += old Cr * Bi
_global_store_b64 v[18:19], v[22:23], off          // store D
s_mov_b64 exec, -1                                 // full mask -> exec
s_nop 0                                            // 1 wait state required when next inst writes vgprs held by previous dwordx4 store inst
/* optSingleColVgpr=0 optSharedColVgpr=0 optSGPRUsage=None optSrdIncForRow=0 */

/******************************************/
/* Global Write Alpha Beta Edge Batch #7 (d1,d0,vc1,vc0) = */
/*    (1,0,3,0:vw1); (1,0,3,1:vw1)        */
/******************************************/

/* calc coords, apply mask, and issue loads (if necessary) */
/* (d1,vc1,d0,vc0)=(1,3,0,0) */
_v_add_co_u32 v1, vcc, v1, 1                       // coord1.1: coord1Vgpr += d1*sg1*VW + vc1
GLOBAL_OFFSET_C 12, 0, 1, 8
v_mov_b32 v8, v12                                  // temp store offset 0
v_mov_b32 v9, v13                                  // temp store offset 1
v_cmp_lt_u32 s[20:21], v0, s[sgprSizesFree+0]      // coord0 < size0
v_cmp_lt_u32 s[22:23], v1, s[sgprSizesFree+1]      // coord1 < size1
s_and_b64 s[24:25], s[20:21], s[22:23]             // in0 && in1
s_mov_b64 exec, s[24:25]                           // sgprs -> exec
_v_add_co_u32 v12, vcc, v4, v8                     // addrVgpr = C + index*bytes (lo)
_v_addc_co_u32 v13, vcc, v5, v9, vcc               // addrVgpr = C + index*bytes (hi)
_global_load_b64 v[14:15], v[12:13], off, offset:0 // load C for beta calc
GLOBAL_OFFSET_D 12, 0, 1, 8
v_mov_b32 v8, v12                                  // temp store offset 0
v_mov_b32 v9, v13                                  // temp store offset 1
v_cmp_lt_u32 s[20:21], v0, s[sgprSizesFree+0]      // coord0 < size0
v_cmp_lt_u32 s[22:23], v1, s[sgprSizesFree+1]      // coord1 < size1
s_and_b64 s[24:25], s[20:21], s[22:23]             // in0 && in1
s_mov_b64 exec, s[24:25]                           // sgprs -> exec
_v_add_co_u32 v12, vcc, v2, v8                     // addrVgpr = D + index*bytes (lo)
_v_addc_co_u32 v13, vcc, v3, v9, vcc               // addrVgpr = D + index*bytes (hi)
s_mov_b64 exec, -1                                 // full mask -1 -> exec
/* (d1,vc1,d0,vc0)=(1,3,0,1) */
_v_add_co_u32 v6, vcc, v0, 1                       // coord0.1: coord0 += d0*sg0*VW + vc0
GLOBAL_OFFSET_C 18, 6, 1, 8
v_mov_b32 v8, v18                                  // temp store offset 0
v_mov_b32 v9, v19                                  // temp store offset 1
v_cmp_lt_u32 s[20:21], v6, s[sgprSizesFree+0]      // coord0 < size0
v_cmp_lt_u32 s[22:23], v1, s[sgprSizesFree+1]      // coord1 < size1
s_and_b64 s[26:27], s[20:21], s[22:23]             // in0 && in1
s_mov_b64 exec, s[26:27]                           // sgprs -> exec
_v_add_co_u32 v18, vcc, v4, v8                     // addrVgpr = C + index*bytes (lo)
_v_addc_co_u32 v19, vcc, v5, v9, vcc               // addrVgpr = C + index*bytes (hi)
_global_load_b64 v[20:21], v[18:19], off, offset:0 // load C for beta calc
GLOBAL_OFFSET_D 18, 6, 1, 8
v_mov_b32 v8, v18                                  // temp store offset 0
v_mov_b32 v9, v19                                  // temp store offset 1
v_cmp_lt_u32 s[20:21], v6, s[sgprSizesFree+0]      // coord0 < size0
v_cmp_lt_u32 s[22:23], v1, s[sgprSizesFree+1]      // coord1 < size1
s_and_b64 s[26:27], s[20:21], s[22:23]             // in0 && in1
s_mov_b64 exec, s[26:27]                           // sgprs -> exec
_v_add_co_u32 v18, vcc, v2, v8                     // addrVgpr = D + index*bytes (lo)
_v_addc_co_u32 v19, vcc, v3, v9, vcc               // addrVgpr = D + index*bytes (hi)
s_mov_b64 exec, -1                                 // full mask -1 -> exec
v_accvgpr_read_b32 v[vgprValuC+16], acc11 // copy acc to vreg[28]
v_accvgpr_read_b32 v[vgprValuC+17], acc43 // copy acc to vreg[29]
v_accvgpr_read_b32 v[vgprValuC+22], acc15 // copy acc to vreg[30]
v_accvgpr_read_b32 v[vgprValuC+23], acc47 // copy acc to vreg[31]
s_nop 1                                            // 2 wait states required before reading vgpr

/* rC *= alpha batchElements=[(1, 0, 3, 0), (1, 0, 3, 1)] */
v_mov_b32 v11, v[vgprValuC+16]                     // store Cr
v_mul_f32 v[vgprValuC+16], s[sgprAlpha], v[vgprValuC+16] // *= alpha ( Cr = Ar * Cr)
_v_mac_f32 v[vgprValuC+16], -s[sgprAlpha+1], v[vgprValuC+17] // *= alpha ( Cr += -Ai * Ci )
v_mul_f32 v[vgprValuC+17], s[sgprAlpha], v[vgprValuC+17] // *= alpha ( Ci = Ar * Ci)
_v_mac_f32 v[vgprValuC+17], s[sgprAlpha+1], v11    // *= alpha ( Ci += Ai * Cr_backup )
v_mov_b32 v11, v[vgprValuC+22]                     // store Cr
v_mul_f32 v[vgprValuC+22], s[sgprAlpha], v[vgprValuC+22] // *= alpha ( Cr = Ar * Cr)
_v_mac_f32 v[vgprValuC+22], -s[sgprAlpha+1], v[vgprValuC+23] // *= alpha ( Cr += -Ai * Ci )
v_mul_f32 v[vgprValuC+23], s[sgprAlpha], v[vgprValuC+23] // *= alpha ( Ci = Ar * Ci)
_v_mac_f32 v[vgprValuC+23], s[sgprAlpha+1], v11    // *= alpha ( Ci += Ai * Cr_backup )
s_waitcnt vmcnt(0)                                 // wait C

/* apply mask, calc new C and issue writes */
s_mov_b64 exec, s[24:25]                           // sgprs -> exec
_v_mac_f32 v[vgprValuC+16], v14, s[sgprBeta]       // finalSum Cr += old Cr * Br
_v_mac_f32 v[vgprValuC+16], v15, -s[sgprBeta+1]    // finalSum Cr += old Ci * -Bi
_v_mac_f32 v[vgprValuC+17], v15, s[sgprBeta]       // finalSum Ci += old Ci * Br
_v_mac_f32 v[vgprValuC+17], v14, s[sgprBeta+1]     // finalSum Ci += old Cr * Bi
_global_store_b64 v[12:13], v[16:17], off          // store D
s_mov_b64 exec, s[26:27]                           // sgprs -> exec
_v_mac_f32 v[vgprValuC+22], v20, s[sgprBeta]       // finalSum Cr += old Cr * Br
_v_mac_f32 v[vgprValuC+22], v21, -s[sgprBeta+1]    // finalSum Cr += old Ci * -Bi
_v_mac_f32 v[vgprValuC+23], v21, s[sgprBeta]       // finalSum Ci += old Ci * Br
_v_mac_f32 v[vgprValuC+23], v20, s[sgprBeta+1]     // finalSum Ci += old Cr * Bi
_global_store_b64 v[18:19], v[22:23], off          // store D
s_mov_b64 exec, -1                                 // full mask -> exec
s_nop 0                                            // 1 wait state required when next inst writes vgprs held by previous dwordx4 store inst
/* optSingleColVgpr=0 optSharedColVgpr=0 optSGPRUsage=None optSrdIncForRow=0 */

/******************************************/
/* Global Write Alpha Beta Edge Batch #8 (d1,d0,vc1,vc0) = */
/*    (2,0,0,0:vw1); (2,0,0,1:vw1)        */
/******************************************/

/* calc coords, apply mask, and issue loads (if necessary) */
/* (d1,vc1,d0,vc0)=(2,0,0,0) */
_v_add_co_u32 v1, vcc, v1, 13                      // coord1.1: coord1Vgpr += d1*sg1*VW + vc1
GLOBAL_OFFSET_C 12, 0, 1, 8
v_mov_b32 v8, v12                                  // temp store offset 0
v_mov_b32 v9, v13                                  // temp store offset 1
v_cmp_lt_u32 s[20:21], v0, s[sgprSizesFree+0]      // coord0 < size0
v_cmp_lt_u32 s[22:23], v1, s[sgprSizesFree+1]      // coord1 < size1
s_and_b64 s[24:25], s[20:21], s[22:23]             // in0 && in1
s_mov_b64 exec, s[24:25]                           // sgprs -> exec
_v_add_co_u32 v12, vcc, v4, v8                     // addrVgpr = C + index*bytes (lo)
_v_addc_co_u32 v13, vcc, v5, v9, vcc               // addrVgpr = C + index*bytes (hi)
_global_load_b64 v[14:15], v[12:13], off, offset:0 // load C for beta calc
GLOBAL_OFFSET_D 12, 0, 1, 8
v_mov_b32 v8, v12                                  // temp store offset 0
v_mov_b32 v9, v13                                  // temp store offset 1
v_cmp_lt_u32 s[20:21], v0, s[sgprSizesFree+0]      // coord0 < size0
v_cmp_lt_u32 s[22:23], v1, s[sgprSizesFree+1]      // coord1 < size1
s_and_b64 s[24:25], s[20:21], s[22:23]             // in0 && in1
s_mov_b64 exec, s[24:25]                           // sgprs -> exec
_v_add_co_u32 v12, vcc, v2, v8                     // addrVgpr = D + index*bytes (lo)
_v_addc_co_u32 v13, vcc, v3, v9, vcc               // addrVgpr = D + index*bytes (hi)
s_mov_b64 exec, -1                                 // full mask -1 -> exec
/* (d1,vc1,d0,vc0)=(2,0,0,1) */
_v_add_co_u32 v6, vcc, v0, 1                       // coord0.1: coord0 += d0*sg0*VW + vc0
GLOBAL_OFFSET_C 18, 6, 1, 8
v_mov_b32 v8, v18                                  // temp store offset 0
v_mov_b32 v9, v19                                  // temp store offset 1
v_cmp_lt_u32 s[20:21], v6, s[sgprSizesFree+0]      // coord0 < size0
v_cmp_lt_u32 s[22:23], v1, s[sgprSizesFree+1]      // coord1 < size1
s_and_b64 s[26:27], s[20:21], s[22:23]             // in0 && in1
s_mov_b64 exec, s[26:27]                           // sgprs -> exec
_v_add_co_u32 v18, vcc, v4, v8                     // addrVgpr = C + index*bytes (lo)
_v_addc_co_u32 v19, vcc, v5, v9, vcc               // addrVgpr = C + index*bytes (hi)
_global_load_b64 v[20:21], v[18:19], off, offset:0 // load C for beta calc
GLOBAL_OFFSET_D 18, 6, 1, 8
v_mov_b32 v8, v18                                  // temp store offset 0
v_mov_b32 v9, v19                                  // temp store offset 1
v_cmp_lt_u32 s[20:21], v6, s[sgprSizesFree+0]      // coord0 < size0
v_cmp_lt_u32 s[22:23], v1, s[sgprSizesFree+1]      // coord1 < size1
s_and_b64 s[26:27], s[20:21], s[22:23]             // in0 && in1
s_mov_b64 exec, s[26:27]                           // sgprs -> exec
_v_add_co_u32 v18, vcc, v2, v8                     // addrVgpr = D + index*bytes (lo)
_v_addc_co_u32 v19, vcc, v3, v9, vcc               // addrVgpr = D + index*bytes (hi)
s_mov_b64 exec, -1                                 // full mask -1 -> exec
v_accvgpr_read_b32 v[vgprValuC+16], acc16 // copy acc to vreg[32]
v_accvgpr_read_b32 v[vgprValuC+17], acc48 // copy acc to vreg[33]
v_accvgpr_read_b32 v[vgprValuC+22], acc20 // copy acc to vreg[34]
v_accvgpr_read_b32 v[vgprValuC+23], acc52 // copy acc to vreg[35]
s_nop 1                                            // 2 wait states required before reading vgpr

/* rC *= alpha batchElements=[(2, 0, 0, 0), (2, 0, 0, 1)] */
v_mov_b32 v11, v[vgprValuC+16]                     // store Cr
v_mul_f32 v[vgprValuC+16], s[sgprAlpha], v[vgprValuC+16] // *= alpha ( Cr = Ar * Cr)
_v_mac_f32 v[vgprValuC+16], -s[sgprAlpha+1], v[vgprValuC+17] // *= alpha ( Cr += -Ai * Ci )
v_mul_f32 v[vgprValuC+17], s[sgprAlpha], v[vgprValuC+17] // *= alpha ( Ci = Ar * Ci)
_v_mac_f32 v[vgprValuC+17], s[sgprAlpha+1], v11    // *= alpha ( Ci += Ai * Cr_backup )
v_mov_b32 v11, v[vgprValuC+22]                     // store Cr
v_mul_f32 v[vgprValuC+22], s[sgprAlpha], v[vgprValuC+22] // *= alpha ( Cr = Ar * Cr)
_v_mac_f32 v[vgprValuC+22], -s[sgprAlpha+1], v[vgprValuC+23] // *= alpha ( Cr += -Ai * Ci )
v_mul_f32 v[vgprValuC+23], s[sgprAlpha], v[vgprValuC+23] // *= alpha ( Ci = Ar * Ci)
_v_mac_f32 v[vgprValuC+23], s[sgprAlpha+1], v11    // *= alpha ( Ci += Ai * Cr_backup )
s_waitcnt vmcnt(0)                                 // wait C

/* apply mask, calc new C and issue writes */
s_mov_b64 exec, s[24:25]                           // sgprs -> exec
_v_mac_f32 v[vgprValuC+16], v14, s[sgprBeta]       // finalSum Cr += old Cr * Br
_v_mac_f32 v[vgprValuC+16], v15, -s[sgprBeta+1]    // finalSum Cr += old Ci * -Bi
_v_mac_f32 v[vgprValuC+17], v15, s[sgprBeta]       // finalSum Ci += old Ci * Br
_v_mac_f32 v[vgprValuC+17], v14, s[sgprBeta+1]     // finalSum Ci += old Cr * Bi
_global_store_b64 v[12:13], v[16:17], off          // store D
s_mov_b64 exec, s[26:27]                           // sgprs -> exec
_v_mac_f32 v[vgprValuC+22], v20, s[sgprBeta]       // finalSum Cr += old Cr * Br
_v_mac_f32 v[vgprValuC+22], v21, -s[sgprBeta+1]    // finalSum Cr += old Ci * -Bi
_v_mac_f32 v[vgprValuC+23], v21, s[sgprBeta]       // finalSum Ci += old Ci * Br
_v_mac_f32 v[vgprValuC+23], v20, s[sgprBeta+1]     // finalSum Ci += old Cr * Bi
_global_store_b64 v[18:19], v[22:23], off          // store D
s_mov_b64 exec, -1                                 // full mask -> exec
s_nop 0                                            // 1 wait state required when next inst writes vgprs held by previous dwordx4 store inst
/* optSingleColVgpr=0 optSharedColVgpr=0 optSGPRUsage=None optSrdIncForRow=0 */

/******************************************/
/* Global Write Alpha Beta Edge Batch #9 (d1,d0,vc1,vc0) = */
/*    (2,0,1,0:vw1); (2,0,1,1:vw1)        */
/******************************************/

/* calc coords, apply mask, and issue loads (if necessary) */
/* (d1,vc1,d0,vc0)=(2,1,0,0) */
_v_add_co_u32 v1, vcc, v1, 1                       // coord1.1: coord1Vgpr += d1*sg1*VW + vc1
GLOBAL_OFFSET_C 12, 0, 1, 8
v_mov_b32 v8, v12                                  // temp store offset 0
v_mov_b32 v9, v13                                  // temp store offset 1
v_cmp_lt_u32 s[20:21], v0, s[sgprSizesFree+0]      // coord0 < size0
v_cmp_lt_u32 s[22:23], v1, s[sgprSizesFree+1]      // coord1 < size1
s_and_b64 s[24:25], s[20:21], s[22:23]             // in0 && in1
s_mov_b64 exec, s[24:25]                           // sgprs -> exec
_v_add_co_u32 v12, vcc, v4, v8                     // addrVgpr = C + index*bytes (lo)
_v_addc_co_u32 v13, vcc, v5, v9, vcc               // addrVgpr = C + index*bytes (hi)
_global_load_b64 v[14:15], v[12:13], off, offset:0 // load C for beta calc
GLOBAL_OFFSET_D 12, 0, 1, 8
v_mov_b32 v8, v12                                  // temp store offset 0
v_mov_b32 v9, v13                                  // temp store offset 1
v_cmp_lt_u32 s[20:21], v0, s[sgprSizesFree+0]      // coord0 < size0
v_cmp_lt_u32 s[22:23], v1, s[sgprSizesFree+1]      // coord1 < size1
s_and_b64 s[24:25], s[20:21], s[22:23]             // in0 && in1
s_mov_b64 exec, s[24:25]                           // sgprs -> exec
_v_add_co_u32 v12, vcc, v2, v8                     // addrVgpr = D + index*bytes (lo)
_v_addc_co_u32 v13, vcc, v3, v9, vcc               // addrVgpr = D + index*bytes (hi)
s_mov_b64 exec, -1                                 // full mask -1 -> exec
/* (d1,vc1,d0,vc0)=(2,1,0,1) */
_v_add_co_u32 v6, vcc, v0, 1                       // coord0.1: coord0 += d0*sg0*VW + vc0
GLOBAL_OFFSET_C 18, 6, 1, 8
v_mov_b32 v8, v18                                  // temp store offset 0
v_mov_b32 v9, v19                                  // temp store offset 1
v_cmp_lt_u32 s[20:21], v6, s[sgprSizesFree+0]      // coord0 < size0
v_cmp_lt_u32 s[22:23], v1, s[sgprSizesFree+1]      // coord1 < size1
s_and_b64 s[26:27], s[20:21], s[22:23]             // in0 && in1
s_mov_b64 exec, s[26:27]                           // sgprs -> exec
_v_add_co_u32 v18, vcc, v4, v8                     // addrVgpr = C + index*bytes (lo)
_v_addc_co_u32 v19, vcc, v5, v9, vcc               // addrVgpr = C + index*bytes (hi)
_global_load_b64 v[20:21], v[18:19], off, offset:0 // load C for beta calc
GLOBAL_OFFSET_D 18, 6, 1, 8
v_mov_b32 v8, v18                                  // temp store offset 0
v_mov_b32 v9, v19                                  // temp store offset 1
v_cmp_lt_u32 s[20:21], v6, s[sgprSizesFree+0]      // coord0 < size0
v_cmp_lt_u32 s[22:23], v1, s[sgprSizesFree+1]      // coord1 < size1
s_and_b64 s[26:27], s[20:21], s[22:23]             // in0 && in1
s_mov_b64 exec, s[26:27]                           // sgprs -> exec
_v_add_co_u32 v18, vcc, v2, v8                     // addrVgpr = D + index*bytes (lo)
_v_addc_co_u32 v19, vcc, v3, v9, vcc               // addrVgpr = D + index*bytes (hi)
s_mov_b64 exec, -1                                 // full mask -1 -> exec
v_accvgpr_read_b32 v[vgprValuC+16], acc17 // copy acc to vreg[36]
v_accvgpr_read_b32 v[vgprValuC+17], acc49 // copy acc to vreg[37]
v_accvgpr_read_b32 v[vgprValuC+22], acc21 // copy acc to vreg[38]
v_accvgpr_read_b32 v[vgprValuC+23], acc53 // copy acc to vreg[39]
s_nop 1                                            // 2 wait states required before reading vgpr

/* rC *= alpha batchElements=[(2, 0, 1, 0), (2, 0, 1, 1)] */
v_mov_b32 v11, v[vgprValuC+16]                     // store Cr
v_mul_f32 v[vgprValuC+16], s[sgprAlpha], v[vgprValuC+16] // *= alpha ( Cr = Ar * Cr)
_v_mac_f32 v[vgprValuC+16], -s[sgprAlpha+1], v[vgprValuC+17] // *= alpha ( Cr += -Ai * Ci )
v_mul_f32 v[vgprValuC+17], s[sgprAlpha], v[vgprValuC+17] // *= alpha ( Ci = Ar * Ci)
_v_mac_f32 v[vgprValuC+17], s[sgprAlpha+1], v11    // *= alpha ( Ci += Ai * Cr_backup )
v_mov_b32 v11, v[vgprValuC+22]                     // store Cr
v_mul_f32 v[vgprValuC+22], s[sgprAlpha], v[vgprValuC+22] // *= alpha ( Cr = Ar * Cr)
_v_mac_f32 v[vgprValuC+22], -s[sgprAlpha+1], v[vgprValuC+23] // *= alpha ( Cr += -Ai * Ci )
v_mul_f32 v[vgprValuC+23], s[sgprAlpha], v[vgprValuC+23] // *= alpha ( Ci = Ar * Ci)
_v_mac_f32 v[vgprValuC+23], s[sgprAlpha+1], v11    // *= alpha ( Ci += Ai * Cr_backup )
s_waitcnt vmcnt(0)                                 // wait C

/* apply mask, calc new C and issue writes */
s_mov_b64 exec, s[24:25]                           // sgprs -> exec
_v_mac_f32 v[vgprValuC+16], v14, s[sgprBeta]       // finalSum Cr += old Cr * Br
_v_mac_f32 v[vgprValuC+16], v15, -s[sgprBeta+1]    // finalSum Cr += old Ci * -Bi
_v_mac_f32 v[vgprValuC+17], v15, s[sgprBeta]       // finalSum Ci += old Ci * Br
_v_mac_f32 v[vgprValuC+17], v14, s[sgprBeta+1]     // finalSum Ci += old Cr * Bi
_global_store_b64 v[12:13], v[16:17], off          // store D
s_mov_b64 exec, s[26:27]                           // sgprs -> exec
_v_mac_f32 v[vgprValuC+22], v20, s[sgprBeta]       // finalSum Cr += old Cr * Br
_v_mac_f32 v[vgprValuC+22], v21, -s[sgprBeta+1]    // finalSum Cr += old Ci * -Bi
_v_mac_f32 v[vgprValuC+23], v21, s[sgprBeta]       // finalSum Ci += old Ci * Br
_v_mac_f32 v[vgprValuC+23], v20, s[sgprBeta+1]     // finalSum Ci += old Cr * Bi
_global_store_b64 v[18:19], v[22:23], off          // store D
s_mov_b64 exec, -1                                 // full mask -> exec
s_nop 0                                            // 1 wait state required when next inst writes vgprs held by previous dwordx4 store inst
/* optSingleColVgpr=0 optSharedColVgpr=0 optSGPRUsage=None optSrdIncForRow=0 */

/******************************************/
/* Global Write Alpha Beta Edge Batch #10 (d1,d0,vc1,vc0) = */
/*    (2,0,2,0:vw1); (2,0,2,1:vw1)        */
/******************************************/

/* calc coords, apply mask, and issue loads (if necessary) */
/* (d1,vc1,d0,vc0)=(2,2,0,0) */
_v_add_co_u32 v1, vcc, v1, 1                       // coord1.1: coord1Vgpr += d1*sg1*VW + vc1
GLOBAL_OFFSET_C 12, 0, 1, 8
v_mov_b32 v8, v12                                  // temp store offset 0
v_mov_b32 v9, v13                                  // temp store offset 1
v_cmp_lt_u32 s[20:21], v0, s[sgprSizesFree+0]      // coord0 < size0
v_cmp_lt_u32 s[22:23], v1, s[sgprSizesFree+1]      // coord1 < size1
s_and_b64 s[24:25], s[20:21], s[22:23]             // in0 && in1
s_mov_b64 exec, s[24:25]                           // sgprs -> exec
_v_add_co_u32 v12, vcc, v4, v8                     // addrVgpr = C + index*bytes (lo)
_v_addc_co_u32 v13, vcc, v5, v9, vcc               // addrVgpr = C + index*bytes (hi)
_global_load_b64 v[14:15], v[12:13], off, offset:0 // load C for beta calc
GLOBAL_OFFSET_D 12, 0, 1, 8
v_mov_b32 v8, v12                                  // temp store offset 0
v_mov_b32 v9, v13                                  // temp store offset 1
v_cmp_lt_u32 s[20:21], v0, s[sgprSizesFree+0]      // coord0 < size0
v_cmp_lt_u32 s[22:23], v1, s[sgprSizesFree+1]      // coord1 < size1
s_and_b64 s[24:25], s[20:21], s[22:23]             // in0 && in1
s_mov_b64 exec, s[24:25]                           // sgprs -> exec
_v_add_co_u32 v12, vcc, v2, v8                     // addrVgpr = D + index*bytes (lo)
_v_addc_co_u32 v13, vcc, v3, v9, vcc               // addrVgpr = D + index*bytes (hi)
s_mov_b64 exec, -1                                 // full mask -1 -> exec
/* (d1,vc1,d0,vc0)=(2,2,0,1) */
_v_add_co_u32 v6, vcc, v0, 1                       // coord0.1: coord0 += d0*sg0*VW + vc0
GLOBAL_OFFSET_C 18, 6, 1, 8
v_mov_b32 v8, v18                                  // temp store offset 0
v_mov_b32 v9, v19                                  // temp store offset 1
v_cmp_lt_u32 s[20:21], v6, s[sgprSizesFree+0]      // coord0 < size0
v_cmp_lt_u32 s[22:23], v1, s[sgprSizesFree+1]      // coord1 < size1
s_and_b64 s[26:27], s[20:21], s[22:23]             // in0 && in1
s_mov_b64 exec, s[26:27]                           // sgprs -> exec
_v_add_co_u32 v18, vcc, v4, v8                     // addrVgpr = C + index*bytes (lo)
_v_addc_co_u32 v19, vcc, v5, v9, vcc               // addrVgpr = C + index*bytes (hi)
_global_load_b64 v[20:21], v[18:19], off, offset:0 // load C for beta calc
GLOBAL_OFFSET_D 18, 6, 1, 8
v_mov_b32 v8, v18                                  // temp store offset 0
v_mov_b32 v9, v19                                  // temp store offset 1
v_cmp_lt_u32 s[20:21], v6, s[sgprSizesFree+0]      // coord0 < size0
v_cmp_lt_u32 s[22:23], v1, s[sgprSizesFree+1]      // coord1 < size1
s_and_b64 s[26:27], s[20:21], s[22:23]             // in0 && in1
s_mov_b64 exec, s[26:27]                           // sgprs -> exec
_v_add_co_u32 v18, vcc, v2, v8                     // addrVgpr = D + index*bytes (lo)
_v_addc_co_u32 v19, vcc, v3, v9, vcc               // addrVgpr = D + index*bytes (hi)
s_mov_b64 exec, -1                                 // full mask -1 -> exec
v_accvgpr_read_b32 v[vgprValuC+16], acc18 // copy acc to vreg[40]
v_accvgpr_read_b32 v[vgprValuC+17], acc50 // copy acc to vreg[41]
v_accvgpr_read_b32 v[vgprValuC+22], acc22 // copy acc to vreg[42]
v_accvgpr_read_b32 v[vgprValuC+23], acc54 // copy acc to vreg[43]
s_nop 1                                            // 2 wait states required before reading vgpr

/* rC *= alpha batchElements=[(2, 0, 2, 0), (2, 0, 2, 1)] */
v_mov_b32 v11, v[vgprValuC+16]                     // store Cr
v_mul_f32 v[vgprValuC+16], s[sgprAlpha], v[vgprValuC+16] // *= alpha ( Cr = Ar * Cr)
_v_mac_f32 v[vgprValuC+16], -s[sgprAlpha+1], v[vgprValuC+17] // *= alpha ( Cr += -Ai * Ci )
v_mul_f32 v[vgprValuC+17], s[sgprAlpha], v[vgprValuC+17] // *= alpha ( Ci = Ar * Ci)
_v_mac_f32 v[vgprValuC+17], s[sgprAlpha+1], v11    // *= alpha ( Ci += Ai * Cr_backup )
v_mov_b32 v11, v[vgprValuC+22]                     // store Cr
v_mul_f32 v[vgprValuC+22], s[sgprAlpha], v[vgprValuC+22] // *= alpha ( Cr = Ar * Cr)
_v_mac_f32 v[vgprValuC+22], -s[sgprAlpha+1], v[vgprValuC+23] // *= alpha ( Cr += -Ai * Ci )
v_mul_f32 v[vgprValuC+23], s[sgprAlpha], v[vgprValuC+23] // *= alpha ( Ci = Ar * Ci)
_v_mac_f32 v[vgprValuC+23], s[sgprAlpha+1], v11    // *= alpha ( Ci += Ai * Cr_backup )
s_waitcnt vmcnt(0)                                 // wait C

/* apply mask, calc new C and issue writes */
s_mov_b64 exec, s[24:25]                           // sgprs -> exec
_v_mac_f32 v[vgprValuC+16], v14, s[sgprBeta]       // finalSum Cr += old Cr * Br
_v_mac_f32 v[vgprValuC+16], v15, -s[sgprBeta+1]    // finalSum Cr += old Ci * -Bi
_v_mac_f32 v[vgprValuC+17], v15, s[sgprBeta]       // finalSum Ci += old Ci * Br
_v_mac_f32 v[vgprValuC+17], v14, s[sgprBeta+1]     // finalSum Ci += old Cr * Bi
_global_store_b64 v[12:13], v[16:17], off          // store D
s_mov_b64 exec, s[26:27]                           // sgprs -> exec
_v_mac_f32 v[vgprValuC+22], v20, s[sgprBeta]       // finalSum Cr += old Cr * Br
_v_mac_f32 v[vgprValuC+22], v21, -s[sgprBeta+1]    // finalSum Cr += old Ci * -Bi
_v_mac_f32 v[vgprValuC+23], v21, s[sgprBeta]       // finalSum Ci += old Ci * Br
_v_mac_f32 v[vgprValuC+23], v20, s[sgprBeta+1]     // finalSum Ci += old Cr * Bi
_global_store_b64 v[18:19], v[22:23], off          // store D
s_mov_b64 exec, -1                                 // full mask -> exec
s_nop 0                                            // 1 wait state required when next inst writes vgprs held by previous dwordx4 store inst
/* optSingleColVgpr=0 optSharedColVgpr=0 optSGPRUsage=None optSrdIncForRow=0 */

/******************************************/
/* Global Write Alpha Beta Edge Batch #11 (d1,d0,vc1,vc0) = */
/*    (2,0,3,0:vw1); (2,0,3,1:vw1)        */
/******************************************/

/* calc coords, apply mask, and issue loads (if necessary) */
/* (d1,vc1,d0,vc0)=(2,3,0,0) */
_v_add_co_u32 v1, vcc, v1, 1                       // coord1.1: coord1Vgpr += d1*sg1*VW + vc1
GLOBAL_OFFSET_C 12, 0, 1, 8
v_mov_b32 v8, v12                                  // temp store offset 0
v_mov_b32 v9, v13                                  // temp store offset 1
v_cmp_lt_u32 s[20:21], v0, s[sgprSizesFree+0]      // coord0 < size0
v_cmp_lt_u32 s[22:23], v1, s[sgprSizesFree+1]      // coord1 < size1
s_and_b64 s[24:25], s[20:21], s[22:23]             // in0 && in1
s_mov_b64 exec, s[24:25]                           // sgprs -> exec
_v_add_co_u32 v12, vcc, v4, v8                     // addrVgpr = C + index*bytes (lo)
_v_addc_co_u32 v13, vcc, v5, v9, vcc               // addrVgpr = C + index*bytes (hi)
_global_load_b64 v[14:15], v[12:13], off, offset:0 // load C for beta calc
GLOBAL_OFFSET_D 12, 0, 1, 8
v_mov_b32 v8, v12                                  // temp store offset 0
v_mov_b32 v9, v13                                  // temp store offset 1
v_cmp_lt_u32 s[20:21], v0, s[sgprSizesFree+0]      // coord0 < size0
v_cmp_lt_u32 s[22:23], v1, s[sgprSizesFree+1]      // coord1 < size1
s_and_b64 s[24:25], s[20:21], s[22:23]             // in0 && in1
s_mov_b64 exec, s[24:25]                           // sgprs -> exec
_v_add_co_u32 v12, vcc, v2, v8                     // addrVgpr = D + index*bytes (lo)
_v_addc_co_u32 v13, vcc, v3, v9, vcc               // addrVgpr = D + index*bytes (hi)
s_mov_b64 exec, -1                                 // full mask -1 -> exec
/* (d1,vc1,d0,vc0)=(2,3,0,1) */
_v_add_co_u32 v6, vcc, v0, 1                       // coord0.1: coord0 += d0*sg0*VW + vc0
GLOBAL_OFFSET_C 18, 6, 1, 8
v_mov_b32 v8, v18                                  // temp store offset 0
v_mov_b32 v9, v19                                  // temp store offset 1
v_cmp_lt_u32 s[20:21], v6, s[sgprSizesFree+0]      // coord0 < size0
v_cmp_lt_u32 s[22:23], v1, s[sgprSizesFree+1]      // coord1 < size1
s_and_b64 s[26:27], s[20:21], s[22:23]             // in0 && in1
s_mov_b64 exec, s[26:27]                           // sgprs -> exec
_v_add_co_u32 v18, vcc, v4, v8                     // addrVgpr = C + index*bytes (lo)
_v_addc_co_u32 v19, vcc, v5, v9, vcc               // addrVgpr = C + index*bytes (hi)
_global_load_b64 v[20:21], v[18:19], off, offset:0 // load C for beta calc
GLOBAL_OFFSET_D 18, 6, 1, 8
v_mov_b32 v8, v18                                  // temp store offset 0
v_mov_b32 v9, v19                                  // temp store offset 1
v_cmp_lt_u32 s[20:21], v6, s[sgprSizesFree+0]      // coord0 < size0
v_cmp_lt_u32 s[22:23], v1, s[sgprSizesFree+1]      // coord1 < size1
s_and_b64 s[26:27], s[20:21], s[22:23]             // in0 && in1
s_mov_b64 exec, s[26:27]                           // sgprs -> exec
_v_add_co_u32 v18, vcc, v2, v8                     // addrVgpr = D + index*bytes (lo)
_v_addc_co_u32 v19, vcc, v3, v9, vcc               // addrVgpr = D + index*bytes (hi)
s_mov_b64 exec, -1                                 // full mask -1 -> exec
v_accvgpr_read_b32 v[vgprValuC+16], acc19 // copy acc to vreg[44]
v_accvgpr_read_b32 v[vgprValuC+17], acc51 // copy acc to vreg[45]
v_accvgpr_read_b32 v[vgprValuC+22], acc23 // copy acc to vreg[46]
v_accvgpr_read_b32 v[vgprValuC+23], acc55 // copy acc to vreg[47]
s_nop 1                                            // 2 wait states required before reading vgpr

/* rC *= alpha batchElements=[(2, 0, 3, 0), (2, 0, 3, 1)] */
v_mov_b32 v11, v[vgprValuC+16]                     // store Cr
v_mul_f32 v[vgprValuC+16], s[sgprAlpha], v[vgprValuC+16] // *= alpha ( Cr = Ar * Cr)
_v_mac_f32 v[vgprValuC+16], -s[sgprAlpha+1], v[vgprValuC+17] // *= alpha ( Cr += -Ai * Ci )
v_mul_f32 v[vgprValuC+17], s[sgprAlpha], v[vgprValuC+17] // *= alpha ( Ci = Ar * Ci)
_v_mac_f32 v[vgprValuC+17], s[sgprAlpha+1], v11    // *= alpha ( Ci += Ai * Cr_backup )
v_mov_b32 v11, v[vgprValuC+22]                     // store Cr
v_mul_f32 v[vgprValuC+22], s[sgprAlpha], v[vgprValuC+22] // *= alpha ( Cr = Ar * Cr)
_v_mac_f32 v[vgprValuC+22], -s[sgprAlpha+1], v[vgprValuC+23] // *= alpha ( Cr += -Ai * Ci )
v_mul_f32 v[vgprValuC+23], s[sgprAlpha], v[vgprValuC+23] // *= alpha ( Ci = Ar * Ci)
_v_mac_f32 v[vgprValuC+23], s[sgprAlpha+1], v11    // *= alpha ( Ci += Ai * Cr_backup )
s_waitcnt vmcnt(0)                                 // wait C

/* apply mask, calc new C and issue writes */
s_mov_b64 exec, s[24:25]                           // sgprs -> exec
_v_mac_f32 v[vgprValuC+16], v14, s[sgprBeta]       // finalSum Cr += old Cr * Br
_v_mac_f32 v[vgprValuC+16], v15, -s[sgprBeta+1]    // finalSum Cr += old Ci * -Bi
_v_mac_f32 v[vgprValuC+17], v15, s[sgprBeta]       // finalSum Ci += old Ci * Br
_v_mac_f32 v[vgprValuC+17], v14, s[sgprBeta+1]     // finalSum Ci += old Cr * Bi
_global_store_b64 v[12:13], v[16:17], off          // store D
s_mov_b64 exec, s[26:27]                           // sgprs -> exec
_v_mac_f32 v[vgprValuC+22], v20, s[sgprBeta]       // finalSum Cr += old Cr * Br
_v_mac_f32 v[vgprValuC+22], v21, -s[sgprBeta+1]    // finalSum Cr += old Ci * -Bi
_v_mac_f32 v[vgprValuC+23], v21, s[sgprBeta]       // finalSum Ci += old Ci * Br
_v_mac_f32 v[vgprValuC+23], v20, s[sgprBeta+1]     // finalSum Ci += old Cr * Bi
_global_store_b64 v[18:19], v[22:23], off          // store D
s_mov_b64 exec, -1                                 // full mask -> exec
s_nop 0                                            // 1 wait state required when next inst writes vgprs held by previous dwordx4 store inst
/* optSingleColVgpr=0 optSharedColVgpr=0 optSGPRUsage=None optSrdIncForRow=0 */

/******************************************/
/* Global Write Alpha Beta Edge Batch #12 (d1,d0,vc1,vc0) = */
/*    (3,0,0,0:vw1); (3,0,0,1:vw1)        */
/******************************************/

/* calc coords, apply mask, and issue loads (if necessary) */
/* (d1,vc1,d0,vc0)=(3,0,0,0) */
_v_add_co_u32 v1, vcc, v1, 13                      // coord1.1: coord1Vgpr += d1*sg1*VW + vc1
GLOBAL_OFFSET_C 12, 0, 1, 8
v_mov_b32 v8, v12                                  // temp store offset 0
v_mov_b32 v9, v13                                  // temp store offset 1
v_cmp_lt_u32 s[20:21], v0, s[sgprSizesFree+0]      // coord0 < size0
v_cmp_lt_u32 s[22:23], v1, s[sgprSizesFree+1]      // coord1 < size1
s_and_b64 s[24:25], s[20:21], s[22:23]             // in0 && in1
s_mov_b64 exec, s[24:25]                           // sgprs -> exec
_v_add_co_u32 v12, vcc, v4, v8                     // addrVgpr = C + index*bytes (lo)
_v_addc_co_u32 v13, vcc, v5, v9, vcc               // addrVgpr = C + index*bytes (hi)
_global_load_b64 v[14:15], v[12:13], off, offset:0 // load C for beta calc
GLOBAL_OFFSET_D 12, 0, 1, 8
v_mov_b32 v8, v12                                  // temp store offset 0
v_mov_b32 v9, v13                                  // temp store offset 1
v_cmp_lt_u32 s[20:21], v0, s[sgprSizesFree+0]      // coord0 < size0
v_cmp_lt_u32 s[22:23], v1, s[sgprSizesFree+1]      // coord1 < size1
s_and_b64 s[24:25], s[20:21], s[22:23]             // in0 && in1
s_mov_b64 exec, s[24:25]                           // sgprs -> exec
_v_add_co_u32 v12, vcc, v2, v8                     // addrVgpr = D + index*bytes (lo)
_v_addc_co_u32 v13, vcc, v3, v9, vcc               // addrVgpr = D + index*bytes (hi)
s_mov_b64 exec, -1                                 // full mask -1 -> exec
/* (d1,vc1,d0,vc0)=(3,0,0,1) */
_v_add_co_u32 v6, vcc, v0, 1                       // coord0.1: coord0 += d0*sg0*VW + vc0
GLOBAL_OFFSET_C 18, 6, 1, 8
v_mov_b32 v8, v18                                  // temp store offset 0
v_mov_b32 v9, v19                                  // temp store offset 1
v_cmp_lt_u32 s[20:21], v6, s[sgprSizesFree+0]      // coord0 < size0
v_cmp_lt_u32 s[22:23], v1, s[sgprSizesFree+1]      // coord1 < size1
s_and_b64 s[26:27], s[20:21], s[22:23]             // in0 && in1
s_mov_b64 exec, s[26:27]                           // sgprs -> exec
_v_add_co_u32 v18, vcc, v4, v8                     // addrVgpr = C + index*bytes (lo)
_v_addc_co_u32 v19, vcc, v5, v9, vcc               // addrVgpr = C + index*bytes (hi)
_global_load_b64 v[20:21], v[18:19], off, offset:0 // load C for beta calc
GLOBAL_OFFSET_D 18, 6, 1, 8
v_mov_b32 v8, v18                                  // temp store offset 0
v_mov_b32 v9, v19                                  // temp store offset 1
v_cmp_lt_u32 s[20:21], v6, s[sgprSizesFree+0]      // coord0 < size0
v_cmp_lt_u32 s[22:23], v1, s[sgprSizesFree+1]      // coord1 < size1
s_and_b64 s[26:27], s[20:21], s[22:23]             // in0 && in1
s_mov_b64 exec, s[26:27]                           // sgprs -> exec
_v_add_co_u32 v18, vcc, v2, v8                     // addrVgpr = D + index*bytes (lo)
_v_addc_co_u32 v19, vcc, v3, v9, vcc               // addrVgpr = D + index*bytes (hi)
s_mov_b64 exec, -1                                 // full mask -1 -> exec
v_accvgpr_read_b32 v[vgprValuC+16], acc24 // copy acc to vreg[48]
v_accvgpr_read_b32 v[vgprValuC+17], acc56 // copy acc to vreg[49]
v_accvgpr_read_b32 v[vgprValuC+22], acc28 // copy acc to vreg[50]
v_accvgpr_read_b32 v[vgprValuC+23], acc60 // copy acc to vreg[51]
s_nop 1                                            // 2 wait states required before reading vgpr

/* rC *= alpha batchElements=[(3, 0, 0, 0), (3, 0, 0, 1)] */
v_mov_b32 v11, v[vgprValuC+16]                     // store Cr
v_mul_f32 v[vgprValuC+16], s[sgprAlpha], v[vgprValuC+16] // *= alpha ( Cr = Ar * Cr)
_v_mac_f32 v[vgprValuC+16], -s[sgprAlpha+1], v[vgprValuC+17] // *= alpha ( Cr += -Ai * Ci )
v_mul_f32 v[vgprValuC+17], s[sgprAlpha], v[vgprValuC+17] // *= alpha ( Ci = Ar * Ci)
_v_mac_f32 v[vgprValuC+17], s[sgprAlpha+1], v11    // *= alpha ( Ci += Ai * Cr_backup )
v_mov_b32 v11, v[vgprValuC+22]                     // store Cr
v_mul_f32 v[vgprValuC+22], s[sgprAlpha], v[vgprValuC+22] // *= alpha ( Cr = Ar * Cr)
_v_mac_f32 v[vgprValuC+22], -s[sgprAlpha+1], v[vgprValuC+23] // *= alpha ( Cr += -Ai * Ci )
v_mul_f32 v[vgprValuC+23], s[sgprAlpha], v[vgprValuC+23] // *= alpha ( Ci = Ar * Ci)
_v_mac_f32 v[vgprValuC+23], s[sgprAlpha+1], v11    // *= alpha ( Ci += Ai * Cr_backup )
s_waitcnt vmcnt(0)                                 // wait C

/* apply mask, calc new C and issue writes */
s_mov_b64 exec, s[24:25]                           // sgprs -> exec
_v_mac_f32 v[vgprValuC+16], v14, s[sgprBeta]       // finalSum Cr += old Cr * Br
_v_mac_f32 v[vgprValuC+16], v15, -s[sgprBeta+1]    // finalSum Cr += old Ci * -Bi
_v_mac_f32 v[vgprValuC+17], v15, s[sgprBeta]       // finalSum Ci += old Ci * Br
_v_mac_f32 v[vgprValuC+17], v14, s[sgprBeta+1]     // finalSum Ci += old Cr * Bi
_global_store_b64 v[12:13], v[16:17], off          // store D
s_mov_b64 exec, s[26:27]                           // sgprs -> exec
_v_mac_f32 v[vgprValuC+22], v20, s[sgprBeta]       // finalSum Cr += old Cr * Br
_v_mac_f32 v[vgprValuC+22], v21, -s[sgprBeta+1]    // finalSum Cr += old Ci * -Bi
_v_mac_f32 v[vgprValuC+23], v21, s[sgprBeta]       // finalSum Ci += old Ci * Br
_v_mac_f32 v[vgprValuC+23], v20, s[sgprBeta+1]     // finalSum Ci += old Cr * Bi
_global_store_b64 v[18:19], v[22:23], off          // store D
s_mov_b64 exec, -1                                 // full mask -> exec
s_nop 0                                            // 1 wait state required when next inst writes vgprs held by previous dwordx4 store inst
/* optSingleColVgpr=0 optSharedColVgpr=0 optSGPRUsage=None optSrdIncForRow=0 */

/******************************************/
/* Global Write Alpha Beta Edge Batch #13 (d1,d0,vc1,vc0) = */
/*    (3,0,1,0:vw1); (3,0,1,1:vw1)        */
/******************************************/

/* calc coords, apply mask, and issue loads (if necessary) */
/* (d1,vc1,d0,vc0)=(3,1,0,0) */
_v_add_co_u32 v1, vcc, v1, 1                       // coord1.1: coord1Vgpr += d1*sg1*VW + vc1
GLOBAL_OFFSET_C 12, 0, 1, 8
v_mov_b32 v8, v12                                  // temp store offset 0
v_mov_b32 v9, v13                                  // temp store offset 1
v_cmp_lt_u32 s[20:21], v0, s[sgprSizesFree+0]      // coord0 < size0
v_cmp_lt_u32 s[22:23], v1, s[sgprSizesFree+1]      // coord1 < size1
s_and_b64 s[24:25], s[20:21], s[22:23]             // in0 && in1
s_mov_b64 exec, s[24:25]                           // sgprs -> exec
_v_add_co_u32 v12, vcc, v4, v8                     // addrVgpr = C + index*bytes (lo)
_v_addc_co_u32 v13, vcc, v5, v9, vcc               // addrVgpr = C + index*bytes (hi)
_global_load_b64 v[14:15], v[12:13], off, offset:0 // load C for beta calc
GLOBAL_OFFSET_D 12, 0, 1, 8
v_mov_b32 v8, v12                                  // temp store offset 0
v_mov_b32 v9, v13                                  // temp store offset 1
v_cmp_lt_u32 s[20:21], v0, s[sgprSizesFree+0]      // coord0 < size0
v_cmp_lt_u32 s[22:23], v1, s[sgprSizesFree+1]      // coord1 < size1
s_and_b64 s[24:25], s[20:21], s[22:23]             // in0 && in1
s_mov_b64 exec, s[24:25]                           // sgprs -> exec
_v_add_co_u32 v12, vcc, v2, v8                     // addrVgpr = D + index*bytes (lo)
_v_addc_co_u32 v13, vcc, v3, v9, vcc               // addrVgpr = D + index*bytes (hi)
s_mov_b64 exec, -1                                 // full mask -1 -> exec
/* (d1,vc1,d0,vc0)=(3,1,0,1) */
_v_add_co_u32 v6, vcc, v0, 1                       // coord0.1: coord0 += d0*sg0*VW + vc0
GLOBAL_OFFSET_C 18, 6, 1, 8
v_mov_b32 v8, v18                                  // temp store offset 0
v_mov_b32 v9, v19                                  // temp store offset 1
v_cmp_lt_u32 s[20:21], v6, s[sgprSizesFree+0]      // coord0 < size0
v_cmp_lt_u32 s[22:23], v1, s[sgprSizesFree+1]      // coord1 < size1
s_and_b64 s[26:27], s[20:21], s[22:23]             // in0 && in1
s_mov_b64 exec, s[26:27]                           // sgprs -> exec
_v_add_co_u32 v18, vcc, v4, v8                     // addrVgpr = C + index*bytes (lo)
_v_addc_co_u32 v19, vcc, v5, v9, vcc               // addrVgpr = C + index*bytes (hi)
_global_load_b64 v[20:21], v[18:19], off, offset:0 // load C for beta calc
GLOBAL_OFFSET_D 18, 6, 1, 8
v_mov_b32 v8, v18                                  // temp store offset 0
v_mov_b32 v9, v19                                  // temp store offset 1
v_cmp_lt_u32 s[20:21], v6, s[sgprSizesFree+0]      // coord0 < size0
v_cmp_lt_u32 s[22:23], v1, s[sgprSizesFree+1]      // coord1 < size1
s_and_b64 s[26:27], s[20:21], s[22:23]             // in0 && in1
s_mov_b64 exec, s[26:27]                           // sgprs -> exec
_v_add_co_u32 v18, vcc, v2, v8                     // addrVgpr = D + index*bytes (lo)
_v_addc_co_u32 v19, vcc, v3, v9, vcc               // addrVgpr = D + index*bytes (hi)
s_mov_b64 exec, -1                                 // full mask -1 -> exec
v_accvgpr_read_b32 v[vgprValuC+16], acc25 // copy acc to vreg[52]
v_accvgpr_read_b32 v[vgprValuC+17], acc57 // copy acc to vreg[53]
v_accvgpr_read_b32 v[vgprValuC+22], acc29 // copy acc to vreg[54]
v_accvgpr_read_b32 v[vgprValuC+23], acc61 // copy acc to vreg[55]
s_nop 1                                            // 2 wait states required before reading vgpr

/* rC *= alpha batchElements=[(3, 0, 1, 0), (3, 0, 1, 1)] */
v_mov_b32 v11, v[vgprValuC+16]                     // store Cr
v_mul_f32 v[vgprValuC+16], s[sgprAlpha], v[vgprValuC+16] // *= alpha ( Cr = Ar * Cr)
_v_mac_f32 v[vgprValuC+16], -s[sgprAlpha+1], v[vgprValuC+17] // *= alpha ( Cr += -Ai * Ci )
v_mul_f32 v[vgprValuC+17], s[sgprAlpha], v[vgprValuC+17] // *= alpha ( Ci = Ar * Ci)
_v_mac_f32 v[vgprValuC+17], s[sgprAlpha+1], v11    // *= alpha ( Ci += Ai * Cr_backup )
v_mov_b32 v11, v[vgprValuC+22]                     // store Cr
v_mul_f32 v[vgprValuC+22], s[sgprAlpha], v[vgprValuC+22] // *= alpha ( Cr = Ar * Cr)
_v_mac_f32 v[vgprValuC+22], -s[sgprAlpha+1], v[vgprValuC+23] // *= alpha ( Cr += -Ai * Ci )
v_mul_f32 v[vgprValuC+23], s[sgprAlpha], v[vgprValuC+23] // *= alpha ( Ci = Ar * Ci)
_v_mac_f32 v[vgprValuC+23], s[sgprAlpha+1], v11    // *= alpha ( Ci += Ai * Cr_backup )
s_waitcnt vmcnt(0)                                 // wait C

/* apply mask, calc new C and issue writes */
s_mov_b64 exec, s[24:25]                           // sgprs -> exec
_v_mac_f32 v[vgprValuC+16], v14, s[sgprBeta]       // finalSum Cr += old Cr * Br
_v_mac_f32 v[vgprValuC+16], v15, -s[sgprBeta+1]    // finalSum Cr += old Ci * -Bi
_v_mac_f32 v[vgprValuC+17], v15, s[sgprBeta]       // finalSum Ci += old Ci * Br
_v_mac_f32 v[vgprValuC+17], v14, s[sgprBeta+1]     // finalSum Ci += old Cr * Bi
_global_store_b64 v[12:13], v[16:17], off          // store D
s_mov_b64 exec, s[26:27]                           // sgprs -> exec
_v_mac_f32 v[vgprValuC+22], v20, s[sgprBeta]       // finalSum Cr += old Cr * Br
_v_mac_f32 v[vgprValuC+22], v21, -s[sgprBeta+1]    // finalSum Cr += old Ci * -Bi
_v_mac_f32 v[vgprValuC+23], v21, s[sgprBeta]       // finalSum Ci += old Ci * Br
_v_mac_f32 v[vgprValuC+23], v20, s[sgprBeta+1]     // finalSum Ci += old Cr * Bi
_global_store_b64 v[18:19], v[22:23], off          // store D
s_mov_b64 exec, -1                                 // full mask -> exec
s_nop 0                                            // 1 wait state required when next inst writes vgprs held by previous dwordx4 store inst
/* optSingleColVgpr=0 optSharedColVgpr=0 optSGPRUsage=None optSrdIncForRow=0 */

/******************************************/
/* Global Write Alpha Beta Edge Batch #14 (d1,d0,vc1,vc0) = */
/*    (3,0,2,0:vw1); (3,0,2,1:vw1)        */
/******************************************/

/* calc coords, apply mask, and issue loads (if necessary) */
/* (d1,vc1,d0,vc0)=(3,2,0,0) */
_v_add_co_u32 v1, vcc, v1, 1                       // coord1.1: coord1Vgpr += d1*sg1*VW + vc1
GLOBAL_OFFSET_C 12, 0, 1, 8
v_mov_b32 v8, v12                                  // temp store offset 0
v_mov_b32 v9, v13                                  // temp store offset 1
v_cmp_lt_u32 s[20:21], v0, s[sgprSizesFree+0]      // coord0 < size0
v_cmp_lt_u32 s[22:23], v1, s[sgprSizesFree+1]      // coord1 < size1
s_and_b64 s[24:25], s[20:21], s[22:23]             // in0 && in1
s_mov_b64 exec, s[24:25]                           // sgprs -> exec
_v_add_co_u32 v12, vcc, v4, v8                     // addrVgpr = C + index*bytes (lo)
_v_addc_co_u32 v13, vcc, v5, v9, vcc               // addrVgpr = C + index*bytes (hi)
_global_load_b64 v[14:15], v[12:13], off, offset:0 // load C for beta calc
GLOBAL_OFFSET_D 12, 0, 1, 8
v_mov_b32 v8, v12                                  // temp store offset 0
v_mov_b32 v9, v13                                  // temp store offset 1
v_cmp_lt_u32 s[20:21], v0, s[sgprSizesFree+0]      // coord0 < size0
v_cmp_lt_u32 s[22:23], v1, s[sgprSizesFree+1]      // coord1 < size1
s_and_b64 s[24:25], s[20:21], s[22:23]             // in0 && in1
s_mov_b64 exec, s[24:25]                           // sgprs -> exec
_v_add_co_u32 v12, vcc, v2, v8                     // addrVgpr = D + index*bytes (lo)
_v_addc_co_u32 v13, vcc, v3, v9, vcc               // addrVgpr = D + index*bytes (hi)
s_mov_b64 exec, -1                                 // full mask -1 -> exec
/* (d1,vc1,d0,vc0)=(3,2,0,1) */
_v_add_co_u32 v6, vcc, v0, 1                       // coord0.1: coord0 += d0*sg0*VW + vc0
GLOBAL_OFFSET_C 18, 6, 1, 8
v_mov_b32 v8, v18                                  // temp store offset 0
v_mov_b32 v9, v19                                  // temp store offset 1
v_cmp_lt_u32 s[20:21], v6, s[sgprSizesFree+0]      // coord0 < size0
v_cmp_lt_u32 s[22:23], v1, s[sgprSizesFree+1]      // coord1 < size1
s_and_b64 s[26:27], s[20:21], s[22:23]             // in0 && in1
s_mov_b64 exec, s[26:27]                           // sgprs -> exec
_v_add_co_u32 v18, vcc, v4, v8                     // addrVgpr = C + index*bytes (lo)
_v_addc_co_u32 v19, vcc, v5, v9, vcc               // addrVgpr = C + index*bytes (hi)
_global_load_b64 v[20:21], v[18:19], off, offset:0 // load C for beta calc
GLOBAL_OFFSET_D 18, 6, 1, 8
v_mov_b32 v8, v18                                  // temp store offset 0
v_mov_b32 v9, v19                                  // temp store offset 1
v_cmp_lt_u32 s[20:21], v6, s[sgprSizesFree+0]      // coord0 < size0
v_cmp_lt_u32 s[22:23], v1, s[sgprSizesFree+1]      // coord1 < size1
s_and_b64 s[26:27], s[20:21], s[22:23]             // in0 && in1
s_mov_b64 exec, s[26:27]                           // sgprs -> exec
_v_add_co_u32 v18, vcc, v2, v8                     // addrVgpr = D + index*bytes (lo)
_v_addc_co_u32 v19, vcc, v3, v9, vcc               // addrVgpr = D + index*bytes (hi)
s_mov_b64 exec, -1                                 // full mask -1 -> exec
v_accvgpr_read_b32 v[vgprValuC+16], acc26 // copy acc to vreg[56]
v_accvgpr_read_b32 v[vgprValuC+17], acc58 // copy acc to vreg[57]
v_accvgpr_read_b32 v[vgprValuC+22], acc30 // copy acc to vreg[58]
v_accvgpr_read_b32 v[vgprValuC+23], acc62 // copy acc to vreg[59]
s_nop 1                                            // 2 wait states required before reading vgpr

/* rC *= alpha batchElements=[(3, 0, 2, 0), (3, 0, 2, 1)] */
v_mov_b32 v11, v[vgprValuC+16]                     // store Cr
v_mul_f32 v[vgprValuC+16], s[sgprAlpha], v[vgprValuC+16] // *= alpha ( Cr = Ar * Cr)
_v_mac_f32 v[vgprValuC+16], -s[sgprAlpha+1], v[vgprValuC+17] // *= alpha ( Cr += -Ai * Ci )
v_mul_f32 v[vgprValuC+17], s[sgprAlpha], v[vgprValuC+17] // *= alpha ( Ci = Ar * Ci)
_v_mac_f32 v[vgprValuC+17], s[sgprAlpha+1], v11    // *= alpha ( Ci += Ai * Cr_backup )
v_mov_b32 v11, v[vgprValuC+22]                     // store Cr
v_mul_f32 v[vgprValuC+22], s[sgprAlpha], v[vgprValuC+22] // *= alpha ( Cr = Ar * Cr)
_v_mac_f32 v[vgprValuC+22], -s[sgprAlpha+1], v[vgprValuC+23] // *= alpha ( Cr += -Ai * Ci )
v_mul_f32 v[vgprValuC+23], s[sgprAlpha], v[vgprValuC+23] // *= alpha ( Ci = Ar * Ci)
_v_mac_f32 v[vgprValuC+23], s[sgprAlpha+1], v11    // *= alpha ( Ci += Ai * Cr_backup )
s_waitcnt vmcnt(0)                                 // wait C

/* apply mask, calc new C and issue writes */
s_mov_b64 exec, s[24:25]                           // sgprs -> exec
_v_mac_f32 v[vgprValuC+16], v14, s[sgprBeta]       // finalSum Cr += old Cr * Br
_v_mac_f32 v[vgprValuC+16], v15, -s[sgprBeta+1]    // finalSum Cr += old Ci * -Bi
_v_mac_f32 v[vgprValuC+17], v15, s[sgprBeta]       // finalSum Ci += old Ci * Br
_v_mac_f32 v[vgprValuC+17], v14, s[sgprBeta+1]     // finalSum Ci += old Cr * Bi
_global_store_b64 v[12:13], v[16:17], off          // store D
s_mov_b64 exec, s[26:27]                           // sgprs -> exec
_v_mac_f32 v[vgprValuC+22], v20, s[sgprBeta]       // finalSum Cr += old Cr * Br
_v_mac_f32 v[vgprValuC+22], v21, -s[sgprBeta+1]    // finalSum Cr += old Ci * -Bi
_v_mac_f32 v[vgprValuC+23], v21, s[sgprBeta]       // finalSum Ci += old Ci * Br
_v_mac_f32 v[vgprValuC+23], v20, s[sgprBeta+1]     // finalSum Ci += old Cr * Bi
_global_store_b64 v[18:19], v[22:23], off          // store D
s_mov_b64 exec, -1                                 // full mask -> exec
s_nop 0                                            // 1 wait state required when next inst writes vgprs held by previous dwordx4 store inst
/* optSingleColVgpr=0 optSharedColVgpr=0 optSGPRUsage=None optSrdIncForRow=0 */

/******************************************/
/* Global Write Alpha Beta Edge Batch #15 (d1,d0,vc1,vc0) = */
/*    (3,0,3,0:vw1); (3,0,3,1:vw1)        */
/******************************************/

/* calc coords, apply mask, and issue loads (if necessary) */
/* (d1,vc1,d0,vc0)=(3,3,0,0) */
_v_add_co_u32 v1, vcc, v1, 1                       // coord1.1: coord1Vgpr += d1*sg1*VW + vc1
GLOBAL_OFFSET_C 12, 0, 1, 8
v_mov_b32 v8, v12                                  // temp store offset 0
v_mov_b32 v9, v13                                  // temp store offset 1
v_cmp_lt_u32 s[20:21], v0, s[sgprSizesFree+0]      // coord0 < size0
v_cmp_lt_u32 s[22:23], v1, s[sgprSizesFree+1]      // coord1 < size1
s_and_b64 s[24:25], s[20:21], s[22:23]             // in0 && in1
s_mov_b64 exec, s[24:25]                           // sgprs -> exec
_v_add_co_u32 v12, vcc, v4, v8                     // addrVgpr = C + index*bytes (lo)
_v_addc_co_u32 v13, vcc, v5, v9, vcc               // addrVgpr = C + index*bytes (hi)
_global_load_b64 v[14:15], v[12:13], off, offset:0 // load C for beta calc
GLOBAL_OFFSET_D 12, 0, 1, 8
v_mov_b32 v8, v12                                  // temp store offset 0
v_mov_b32 v9, v13                                  // temp store offset 1
v_cmp_lt_u32 s[20:21], v0, s[sgprSizesFree+0]      // coord0 < size0
v_cmp_lt_u32 s[22:23], v1, s[sgprSizesFree+1]      // coord1 < size1
s_and_b64 s[24:25], s[20:21], s[22:23]             // in0 && in1
s_mov_b64 exec, s[24:25]                           // sgprs -> exec
_v_add_co_u32 v12, vcc, v2, v8                     // addrVgpr = D + index*bytes (lo)
_v_addc_co_u32 v13, vcc, v3, v9, vcc               // addrVgpr = D + index*bytes (hi)
s_mov_b64 exec, -1                                 // full mask -1 -> exec
/* (d1,vc1,d0,vc0)=(3,3,0,1) */
_v_add_co_u32 v6, vcc, v0, 1                       // coord0.1: coord0 += d0*sg0*VW + vc0
GLOBAL_OFFSET_C 18, 6, 1, 8
v_mov_b32 v8, v18                                  // temp store offset 0
v_mov_b32 v9, v19                                  // temp store offset 1
v_cmp_lt_u32 s[20:21], v6, s[sgprSizesFree+0]      // coord0 < size0
v_cmp_lt_u32 s[22:23], v1, s[sgprSizesFree+1]      // coord1 < size1
s_and_b64 s[26:27], s[20:21], s[22:23]             // in0 && in1
s_mov_b64 exec, s[26:27]                           // sgprs -> exec
_v_add_co_u32 v18, vcc, v4, v8                     // addrVgpr = C + index*bytes (lo)
_v_addc_co_u32 v19, vcc, v5, v9, vcc               // addrVgpr = C + index*bytes (hi)
_global_load_b64 v[20:21], v[18:19], off, offset:0 // load C for beta calc
GLOBAL_OFFSET_D 18, 6, 1, 8
v_mov_b32 v8, v18                                  // temp store offset 0
v_mov_b32 v9, v19                                  // temp store offset 1
v_cmp_lt_u32 s[20:21], v6, s[sgprSizesFree+0]      // coord0 < size0
v_cmp_lt_u32 s[22:23], v1, s[sgprSizesFree+1]      // coord1 < size1
s_and_b64 s[26:27], s[20:21], s[22:23]             // in0 && in1
s_mov_b64 exec, s[26:27]                           // sgprs -> exec
_v_add_co_u32 v18, vcc, v2, v8                     // addrVgpr = D + index*bytes (lo)
_v_addc_co_u32 v19, vcc, v3, v9, vcc               // addrVgpr = D + index*bytes (hi)
s_mov_b64 exec, -1                                 // full mask -1 -> exec
v_accvgpr_read_b32 v[vgprValuC+16], acc27 // copy acc to vreg[60]
v_accvgpr_read_b32 v[vgprValuC+17], acc59 // copy acc to vreg[61]
v_accvgpr_read_b32 v[vgprValuC+22], acc31 // copy acc to vreg[62]
v_accvgpr_read_b32 v[vgprValuC+23], acc63 // copy acc to vreg[63]
s_nop 1                                            // 2 wait states required before reading vgpr

/* rC *= alpha batchElements=[(3, 0, 3, 0), (3, 0, 3, 1)] */
v_mov_b32 v11, v[vgprValuC+16]                     // store Cr
v_mul_f32 v[vgprValuC+16], s[sgprAlpha], v[vgprValuC+16] // *= alpha ( Cr = Ar * Cr)
_v_mac_f32 v[vgprValuC+16], -s[sgprAlpha+1], v[vgprValuC+17] // *= alpha ( Cr += -Ai * Ci )
v_mul_f32 v[vgprValuC+17], s[sgprAlpha], v[vgprValuC+17] // *= alpha ( Ci = Ar * Ci)
_v_mac_f32 v[vgprValuC+17], s[sgprAlpha+1], v11    // *= alpha ( Ci += Ai * Cr_backup )
v_mov_b32 v11, v[vgprValuC+22]                     // store Cr
v_mul_f32 v[vgprValuC+22], s[sgprAlpha], v[vgprValuC+22] // *= alpha ( Cr = Ar * Cr)
_v_mac_f32 v[vgprValuC+22], -s[sgprAlpha+1], v[vgprValuC+23] // *= alpha ( Cr += -Ai * Ci )
v_mul_f32 v[vgprValuC+23], s[sgprAlpha], v[vgprValuC+23] // *= alpha ( Ci = Ar * Ci)
_v_mac_f32 v[vgprValuC+23], s[sgprAlpha+1], v11    // *= alpha ( Ci += Ai * Cr_backup )
s_waitcnt vmcnt(0)                                 // wait C

/* apply mask, calc new C and issue writes */
s_mov_b64 exec, s[24:25]                           // sgprs -> exec
_v_mac_f32 v[vgprValuC+16], v14, s[sgprBeta]       // finalSum Cr += old Cr * Br
_v_mac_f32 v[vgprValuC+16], v15, -s[sgprBeta+1]    // finalSum Cr += old Ci * -Bi
_v_mac_f32 v[vgprValuC+17], v15, s[sgprBeta]       // finalSum Ci += old Ci * Br
_v_mac_f32 v[vgprValuC+17], v14, s[sgprBeta+1]     // finalSum Ci += old Cr * Bi
_global_store_b64 v[12:13], v[16:17], off          // store D
s_mov_b64 exec, s[26:27]                           // sgprs -> exec
_v_mac_f32 v[vgprValuC+22], v20, s[sgprBeta]       // finalSum Cr += old Cr * Br
_v_mac_f32 v[vgprValuC+22], v21, -s[sgprBeta+1]    // finalSum Cr += old Ci * -Bi
_v_mac_f32 v[vgprValuC+23], v21, s[sgprBeta]       // finalSum Ci += old Ci * Br
_v_mac_f32 v[vgprValuC+23], v20, s[sgprBeta+1]     // finalSum Ci += old Cr * Bi
_global_store_b64 v[18:19], v[22:23], off          // store D
s_mov_b64 exec, -1                                 // full mask -> exec
s_nop 0                                            // 1 wait state required when next inst writes vgprs held by previous dwordx4 store inst
s_branch label_GW_End_60                           // jump to end
label_GW_End_60:

label_0065:  /// KernelEnd
s_endpgm                                           // Kernel End

